;; amdgpu-corpus repo=ROCm/rocFFT kind=compiled arch=gfx950 opt=O3
	.text
	.amdgcn_target "amdgcn-amd-amdhsa--gfx950"
	.amdhsa_code_object_version 6
	.protected	fft_rtc_fwd_len416_factors_13_2_16_wgs_64_tpt_32_sp_op_CI_CI_sbrr_dirReg ; -- Begin function fft_rtc_fwd_len416_factors_13_2_16_wgs_64_tpt_32_sp_op_CI_CI_sbrr_dirReg
	.globl	fft_rtc_fwd_len416_factors_13_2_16_wgs_64_tpt_32_sp_op_CI_CI_sbrr_dirReg
	.p2align	8
	.type	fft_rtc_fwd_len416_factors_13_2_16_wgs_64_tpt_32_sp_op_CI_CI_sbrr_dirReg,@function
fft_rtc_fwd_len416_factors_13_2_16_wgs_64_tpt_32_sp_op_CI_CI_sbrr_dirReg: ; @fft_rtc_fwd_len416_factors_13_2_16_wgs_64_tpt_32_sp_op_CI_CI_sbrr_dirReg
; %bb.0:
	s_load_dwordx4 s[12:15], s[0:1], 0x18
	s_load_dwordx4 s[8:11], s[0:1], 0x0
	;; [unrolled: 1-line block ×3, first 2 shown]
	v_lshrrev_b32_e32 v1, 5, v0
	v_lshl_or_b32 v6, s2, 1, v1
	s_waitcnt lgkmcnt(0)
	s_load_dwordx2 s[18:19], s[12:13], 0x0
	s_load_dwordx2 s[16:17], s[14:15], 0x0
	v_mov_b32_e32 v2, 0
	v_cmp_lt_u64_e64 s[2:3], s[10:11], 2
	v_mov_b32_e32 v7, v2
	s_and_b64 vcc, exec, s[2:3]
	v_mov_b64_e32 v[4:5], 0
	s_cbranch_vccnz .LBB0_8
; %bb.1:
	s_load_dwordx2 s[2:3], s[0:1], 0x10
	s_add_u32 s20, s14, 8
	s_addc_u32 s21, s15, 0
	s_add_u32 s22, s12, 8
	s_addc_u32 s23, s13, 0
	s_waitcnt lgkmcnt(0)
	s_add_u32 s24, s2, 8
	v_mov_b64_e32 v[4:5], 0
	s_addc_u32 s25, s3, 0
	s_mov_b64 s[26:27], 1
	v_mov_b64_e32 v[24:25], v[4:5]
.LBB0_2:                                ; =>This Inner Loop Header: Depth=1
	s_load_dwordx2 s[28:29], s[24:25], 0x0
                                        ; implicit-def: $vgpr26_vgpr27
	s_waitcnt lgkmcnt(0)
	v_or_b32_e32 v3, s29, v7
	v_cmp_ne_u64_e32 vcc, 0, v[2:3]
	s_and_saveexec_b64 s[2:3], vcc
	s_xor_b64 s[30:31], exec, s[2:3]
	s_cbranch_execz .LBB0_4
; %bb.3:                                ;   in Loop: Header=BB0_2 Depth=1
	v_cvt_f32_u32_e32 v1, s28
	v_cvt_f32_u32_e32 v3, s29
	s_sub_u32 s2, 0, s28
	s_subb_u32 s3, 0, s29
	v_fmac_f32_e32 v1, 0x4f800000, v3
	v_rcp_f32_e32 v1, v1
	s_nop 0
	v_mul_f32_e32 v1, 0x5f7ffffc, v1
	v_mul_f32_e32 v3, 0x2f800000, v1
	v_trunc_f32_e32 v3, v3
	v_fmac_f32_e32 v1, 0xcf800000, v3
	v_cvt_u32_f32_e32 v3, v3
	v_cvt_u32_f32_e32 v1, v1
	v_mul_lo_u32 v8, s2, v3
	v_mul_hi_u32 v10, s2, v1
	v_mul_lo_u32 v9, s3, v1
	v_add_u32_e32 v10, v10, v8
	v_mul_lo_u32 v12, s2, v1
	v_add_u32_e32 v13, v10, v9
	v_mul_hi_u32 v8, v1, v12
	v_mul_hi_u32 v11, v1, v13
	v_mul_lo_u32 v10, v1, v13
	v_mov_b32_e32 v9, v2
	v_lshl_add_u64 v[8:9], v[8:9], 0, v[10:11]
	v_mul_hi_u32 v11, v3, v12
	v_mul_lo_u32 v12, v3, v12
	v_add_co_u32_e32 v8, vcc, v8, v12
	v_mul_hi_u32 v10, v3, v13
	s_nop 0
	v_addc_co_u32_e32 v8, vcc, v9, v11, vcc
	v_mov_b32_e32 v9, v2
	s_nop 0
	v_addc_co_u32_e32 v11, vcc, 0, v10, vcc
	v_mul_lo_u32 v10, v3, v13
	v_lshl_add_u64 v[8:9], v[8:9], 0, v[10:11]
	v_add_co_u32_e32 v1, vcc, v1, v8
	v_mul_lo_u32 v10, s2, v1
	s_nop 0
	v_addc_co_u32_e32 v3, vcc, v3, v9, vcc
	v_mul_lo_u32 v8, s2, v3
	v_mul_hi_u32 v9, s2, v1
	v_add_u32_e32 v8, v9, v8
	v_mul_lo_u32 v9, s3, v1
	v_add_u32_e32 v12, v8, v9
	v_mul_hi_u32 v14, v3, v10
	v_mul_lo_u32 v15, v3, v10
	v_mul_hi_u32 v9, v1, v12
	v_mul_lo_u32 v8, v1, v12
	v_mul_hi_u32 v10, v1, v10
	v_mov_b32_e32 v11, v2
	v_lshl_add_u64 v[8:9], v[10:11], 0, v[8:9]
	v_add_co_u32_e32 v8, vcc, v8, v15
	v_mul_hi_u32 v13, v3, v12
	s_nop 0
	v_addc_co_u32_e32 v8, vcc, v9, v14, vcc
	v_mul_lo_u32 v10, v3, v12
	s_nop 0
	v_addc_co_u32_e32 v11, vcc, 0, v13, vcc
	v_mov_b32_e32 v9, v2
	v_lshl_add_u64 v[8:9], v[8:9], 0, v[10:11]
	v_add_co_u32_e32 v1, vcc, v1, v8
	v_mul_hi_u32 v10, v6, v1
	s_nop 0
	v_addc_co_u32_e32 v3, vcc, v3, v9, vcc
	v_mad_u64_u32 v[8:9], s[2:3], v6, v3, 0
	v_mov_b32_e32 v11, v2
	v_lshl_add_u64 v[8:9], v[10:11], 0, v[8:9]
	v_mad_u64_u32 v[12:13], s[2:3], v7, v1, 0
	v_add_co_u32_e32 v1, vcc, v8, v12
	v_mad_u64_u32 v[10:11], s[2:3], v7, v3, 0
	s_nop 0
	v_addc_co_u32_e32 v8, vcc, v9, v13, vcc
	v_mov_b32_e32 v9, v2
	s_nop 0
	v_addc_co_u32_e32 v11, vcc, 0, v11, vcc
	v_lshl_add_u64 v[8:9], v[8:9], 0, v[10:11]
	v_mul_lo_u32 v1, s29, v8
	v_mul_lo_u32 v3, s28, v9
	v_mad_u64_u32 v[10:11], s[2:3], s28, v8, 0
	v_add3_u32 v1, v11, v3, v1
	v_sub_u32_e32 v3, v7, v1
	v_mov_b32_e32 v11, s29
	v_sub_co_u32_e32 v14, vcc, v6, v10
	v_lshl_add_u64 v[12:13], v[8:9], 0, 1
	s_nop 0
	v_subb_co_u32_e64 v3, s[2:3], v3, v11, vcc
	v_subrev_co_u32_e64 v10, s[2:3], s28, v14
	v_subb_co_u32_e32 v1, vcc, v7, v1, vcc
	s_nop 0
	v_subbrev_co_u32_e64 v3, s[2:3], 0, v3, s[2:3]
	v_cmp_le_u32_e64 s[2:3], s29, v3
	v_cmp_le_u32_e32 vcc, s29, v1
	s_nop 0
	v_cndmask_b32_e64 v11, 0, -1, s[2:3]
	v_cmp_le_u32_e64 s[2:3], s28, v10
	s_nop 1
	v_cndmask_b32_e64 v10, 0, -1, s[2:3]
	v_cmp_eq_u32_e64 s[2:3], s29, v3
	s_nop 1
	v_cndmask_b32_e64 v3, v11, v10, s[2:3]
	v_lshl_add_u64 v[10:11], v[8:9], 0, 2
	v_cmp_ne_u32_e64 s[2:3], 0, v3
	s_nop 1
	v_cndmask_b32_e64 v3, v13, v11, s[2:3]
	v_cndmask_b32_e64 v11, 0, -1, vcc
	v_cmp_le_u32_e32 vcc, s28, v14
	s_nop 1
	v_cndmask_b32_e64 v13, 0, -1, vcc
	v_cmp_eq_u32_e32 vcc, s29, v1
	s_nop 1
	v_cndmask_b32_e32 v1, v11, v13, vcc
	v_cmp_ne_u32_e32 vcc, 0, v1
	v_cndmask_b32_e64 v1, v12, v10, s[2:3]
	s_nop 0
	v_cndmask_b32_e32 v27, v9, v3, vcc
	v_cndmask_b32_e32 v26, v8, v1, vcc
.LBB0_4:                                ;   in Loop: Header=BB0_2 Depth=1
	s_andn2_saveexec_b64 s[2:3], s[30:31]
	s_cbranch_execz .LBB0_6
; %bb.5:                                ;   in Loop: Header=BB0_2 Depth=1
	v_cvt_f32_u32_e32 v1, s28
	s_sub_i32 s30, 0, s28
	v_mov_b32_e32 v27, v2
	v_rcp_iflag_f32_e32 v1, v1
	s_nop 0
	v_mul_f32_e32 v1, 0x4f7ffffe, v1
	v_cvt_u32_f32_e32 v1, v1
	v_mul_lo_u32 v3, s30, v1
	v_mul_hi_u32 v3, v1, v3
	v_add_u32_e32 v1, v1, v3
	v_mul_hi_u32 v1, v6, v1
	v_mul_lo_u32 v3, v1, s28
	v_sub_u32_e32 v3, v6, v3
	v_add_u32_e32 v8, 1, v1
	v_subrev_u32_e32 v9, s28, v3
	v_cmp_le_u32_e32 vcc, s28, v3
	s_nop 1
	v_cndmask_b32_e32 v3, v3, v9, vcc
	v_cndmask_b32_e32 v1, v1, v8, vcc
	v_add_u32_e32 v8, 1, v1
	v_cmp_le_u32_e32 vcc, s28, v3
	s_nop 1
	v_cndmask_b32_e32 v26, v1, v8, vcc
.LBB0_6:                                ;   in Loop: Header=BB0_2 Depth=1
	s_or_b64 exec, exec, s[2:3]
	v_mad_u64_u32 v[8:9], s[2:3], v26, s28, 0
	s_load_dwordx2 s[2:3], s[22:23], 0x0
	v_mul_lo_u32 v1, v27, s28
	v_mul_lo_u32 v3, v26, s29
	s_load_dwordx2 s[28:29], s[20:21], 0x0
	s_add_u32 s26, s26, 1
	v_add3_u32 v1, v9, v3, v1
	v_sub_co_u32_e32 v3, vcc, v6, v8
	s_addc_u32 s27, s27, 0
	s_nop 0
	v_subb_co_u32_e32 v1, vcc, v7, v1, vcc
	s_add_u32 s20, s20, 8
	s_waitcnt lgkmcnt(0)
	v_mul_lo_u32 v6, s2, v1
	v_mul_lo_u32 v7, s3, v3
	v_mad_u64_u32 v[4:5], s[2:3], s2, v3, v[4:5]
	s_addc_u32 s21, s21, 0
	v_add3_u32 v5, v7, v5, v6
	v_mul_lo_u32 v1, s28, v1
	v_mul_lo_u32 v6, s29, v3
	v_mad_u64_u32 v[24:25], s[2:3], s28, v3, v[24:25]
	s_add_u32 s22, s22, 8
	v_add3_u32 v25, v6, v25, v1
	s_addc_u32 s23, s23, 0
	v_mov_b64_e32 v[6:7], s[10:11]
	s_add_u32 s24, s24, 8
	v_cmp_ge_u64_e32 vcc, s[26:27], v[6:7]
	s_addc_u32 s25, s25, 0
	s_cbranch_vccnz .LBB0_9
; %bb.7:                                ;   in Loop: Header=BB0_2 Depth=1
	v_mov_b64_e32 v[6:7], v[26:27]
	s_branch .LBB0_2
.LBB0_8:
	v_mov_b64_e32 v[24:25], v[4:5]
	v_mov_b64_e32 v[26:27], v[6:7]
.LBB0_9:
	s_load_dwordx2 s[0:1], s[0:1], 0x28
	s_lshl_b64 s[10:11], s[10:11], 3
	s_add_u32 s2, s14, s10
	s_addc_u32 s3, s15, s11
	v_and_b32_e32 v114, 31, v0
	s_waitcnt lgkmcnt(0)
	v_cmp_gt_u64_e32 vcc, s[0:1], v[26:27]
	v_cmp_le_u64_e64 s[0:1], s[0:1], v[26:27]
                                        ; implicit-def: $sgpr14_sgpr15
                                        ; implicit-def: $vgpr115
                                        ; implicit-def: $vgpr116
                                        ; implicit-def: $vgpr117
                                        ; implicit-def: $vgpr119
                                        ; implicit-def: $vgpr118
                                        ; implicit-def: $vgpr120
	s_and_saveexec_b64 s[20:21], s[0:1]
	s_xor_b64 s[0:1], exec, s[20:21]
; %bb.10:
	v_and_b32_e32 v114, 31, v0
	v_or_b32_e32 v115, 32, v114
	v_or_b32_e32 v116, 64, v114
	v_or_b32_e32 v117, 0x60, v114
	v_or_b32_e32 v119, 0x80, v114
	v_or_b32_e32 v118, 0xa0, v114
	v_or_b32_e32 v120, 0xc0, v114
	s_mov_b64 s[14:15], 0
                                        ; implicit-def: $vgpr4_vgpr5
; %bb.11:
	s_or_saveexec_b64 s[0:1], s[0:1]
	v_mov_b64_e32 v[2:3], s[14:15]
                                        ; implicit-def: $vgpr36
                                        ; implicit-def: $vgpr34
                                        ; implicit-def: $vgpr38
                                        ; implicit-def: $vgpr40
                                        ; implicit-def: $vgpr42
                                        ; implicit-def: $vgpr44
                                        ; implicit-def: $vgpr46
                                        ; implicit-def: $vgpr48
                                        ; implicit-def: $vgpr50
                                        ; implicit-def: $vgpr28
                                        ; implicit-def: $vgpr32
                                        ; implicit-def: $vgpr22
	s_xor_b64 exec, exec, s[0:1]
	s_cbranch_execz .LBB0_13
; %bb.12:
	s_add_u32 s10, s12, s10
	s_addc_u32 s11, s13, s11
	s_load_dwordx2 s[10:11], s[10:11], 0x0
	v_or_b32_e32 v115, 32, v114
	v_or_b32_e32 v116, 64, v114
	;; [unrolled: 1-line block ×4, first 2 shown]
	s_waitcnt lgkmcnt(0)
	v_mul_lo_u32 v1, s11, v26
	v_mul_lo_u32 v6, s10, v27
	v_mad_u64_u32 v[2:3], s[10:11], s10, v26, 0
	v_add3_u32 v3, v3, v6, v1
	v_mad_u64_u32 v[6:7], s[10:11], s18, v114, 0
	v_mov_b32_e32 v8, v7
	v_lshl_add_u64 v[2:3], v[2:3], 3, s[4:5]
	v_mad_u64_u32 v[8:9], s[10:11], s19, v114, v[8:9]
	v_lshl_add_u64 v[4:5], v[4:5], 3, v[2:3]
	v_mad_u64_u32 v[2:3], s[4:5], s18, v115, 0
	v_mov_b32_e32 v7, v8
	v_mov_b32_e32 v8, v3
	v_mad_u64_u32 v[8:9], s[4:5], s19, v115, v[8:9]
	v_mov_b32_e32 v3, v8
	v_lshl_add_u64 v[8:9], v[2:3], 3, v[4:5]
	v_mad_u64_u32 v[2:3], s[4:5], s18, v116, 0
	v_mov_b32_e32 v10, v3
	v_mad_u64_u32 v[10:11], s[4:5], s19, v116, v[10:11]
	v_mov_b32_e32 v3, v10
	v_lshl_add_u64 v[10:11], v[2:3], 3, v[4:5]
	v_mad_u64_u32 v[2:3], s[4:5], s18, v117, 0
	v_mov_b32_e32 v12, v3
	v_mad_u64_u32 v[12:13], s[4:5], s19, v117, v[12:13]
	v_lshl_add_u64 v[6:7], v[6:7], 3, v[4:5]
	v_mov_b32_e32 v3, v12
	v_lshl_add_u64 v[12:13], v[2:3], 3, v[4:5]
	global_load_dwordx2 v[2:3], v[6:7], off
	global_load_dwordx2 v[22:23], v[8:9], off
	;; [unrolled: 1-line block ×4, first 2 shown]
	v_mad_u64_u32 v[6:7], s[4:5], s18, v119, 0
	v_mov_b32_e32 v8, v7
	v_mad_u64_u32 v[8:9], s[4:5], s19, v119, v[8:9]
	v_or_b32_e32 v118, 0xa0, v114
	v_mov_b32_e32 v7, v8
	v_mad_u64_u32 v[8:9], s[4:5], s18, v118, 0
	v_mov_b32_e32 v10, v9
	v_mad_u64_u32 v[10:11], s[4:5], s19, v118, v[10:11]
	v_or_b32_e32 v120, 0xc0, v114
	v_mov_b32_e32 v9, v10
	;; [unrolled: 5-line block ×8, first 2 shown]
	v_mad_u64_u32 v[30:31], s[4:5], s18, v1, 0
	v_mov_b32_e32 v34, v31
	v_mad_u64_u32 v[34:35], s[4:5], s19, v1, v[34:35]
	v_lshl_add_u64 v[6:7], v[6:7], 3, v[4:5]
	v_mov_b32_e32 v31, v34
	v_lshl_add_u64 v[8:9], v[8:9], 3, v[4:5]
	v_lshl_add_u64 v[10:11], v[10:11], 3, v[4:5]
	;; [unrolled: 1-line block ×8, first 2 shown]
	global_load_dwordx2 v[50:51], v[6:7], off
	global_load_dwordx2 v[48:49], v[8:9], off
	;; [unrolled: 1-line block ×9, first 2 shown]
.LBB0_13:
	s_or_b64 exec, exec, s[0:1]
	s_waitcnt vmcnt(11)
	v_pk_add_f32 v[52:53], v[22:23], v[2:3]
	s_waitcnt vmcnt(2)
	v_pk_add_f32 v[12:13], v[28:29], v[38:39] neg_lo:[0,1] neg_hi:[0,1]
	v_pk_add_f32 v[52:53], v[32:33], v[52:53]
	v_pk_add_f32 v[4:5], v[28:29], v[38:39]
	;; [unrolled: 1-line block ×3, first 2 shown]
	s_waitcnt vmcnt(0)
	v_pk_add_f32 v[54:55], v[22:23], v[36:37]
	v_pk_add_f32 v[28:29], v[50:51], v[28:29]
	v_pk_add_f32 v[60:61], v[22:23], v[36:37] neg_lo:[0,1] neg_hi:[0,1]
	v_pk_add_f32 v[28:29], v[48:49], v[28:29]
	s_mov_b32 s18, 0x3f116cb1
	v_pk_add_f32 v[28:29], v[46:47], v[28:29]
	s_mov_b32 s12, 0xbf52af12
	v_pk_add_f32 v[28:29], v[44:45], v[28:29]
	v_pk_add_f32 v[66:67], v[32:33], v[34:35]
	;; [unrolled: 1-line block ×3, first 2 shown]
	v_pk_add_f32 v[68:69], v[32:33], v[34:35] neg_lo:[0,1] neg_hi:[0,1]
	v_pk_add_f32 v[28:29], v[40:41], v[28:29]
	v_mov_b32_e32 v32, v61
	v_pk_add_f32 v[28:29], v[38:39], v[28:29]
	v_mov_b32_e32 v33, v55
	s_mov_b32 s15, 0x3f62ad3f
	s_mov_b32 s14, 0xbeedf032
	v_pk_add_f32 v[28:29], v[34:35], v[28:29]
	v_pk_mul_f32 v[22:23], v[60:61], s[12:13] op_sel_hi:[1,0]
	v_pk_mul_f32 v[32:33], v[32:33], s[14:15]
	v_mov_b32_e32 v34, v54
	v_mov_b32_e32 v35, v60
	s_mov_b32 s20, s15
	s_mov_b32 s21, s14
	v_mov_b32_e32 v38, v69
	v_mov_b32_e32 v39, v67
	s_mov_b32 s13, s18
	v_pk_add_f32 v[14:15], v[50:51], v[40:41] neg_lo:[0,1] neg_hi:[0,1]
	v_pk_add_f32 v[6:7], v[50:51], v[40:41]
	v_pk_add_f32 v[18:19], v[46:47], v[44:45] neg_lo:[0,1] neg_hi:[0,1]
	v_pk_add_f32 v[8:9], v[46:47], v[44:45]
	s_mov_b32 s10, 0xbf7e222b
	v_pk_add_f32 v[46:47], v[36:37], v[28:29]
	v_pk_fma_f32 v[28:29], v[54:55], s[18:19], v[22:23] op_sel:[0,0,1] op_sel_hi:[1,0,0] neg_lo:[0,0,1] neg_hi:[0,0,1]
	v_pk_fma_f32 v[22:23], v[54:55], s[18:19], v[22:23] op_sel:[0,0,1] op_sel_hi:[1,0,0]
	v_pk_fma_f32 v[36:37], v[34:35], s[20:21], v[32:33]
	v_pk_mul_f32 v[38:39], v[38:39], s[12:13]
	v_mov_b32_e32 v40, v66
	v_mov_b32_e32 v41, v68
	s_mov_b32 s19, s12
	v_pk_fma_f32 v[44:45], v[34:35], s[20:21], v[32:33] neg_lo:[0,0,1] neg_hi:[0,0,1]
	v_mov_b32_e32 v30, v4
	v_mov_b32_e32 v4, v13
	v_pk_add_f32 v[16:17], v[48:49], v[42:43] neg_lo:[0,1] neg_hi:[0,1]
	v_pk_add_f32 v[10:11], v[48:49], v[42:43]
	s_mov_b32 s11, 0x3df6dbef
	v_pk_fma_f32 v[42:43], v[40:41], s[18:19], v[38:39]
	v_mov_b32_e32 v45, v37
	v_pk_fma_f32 v[48:49], v[40:41], s[18:19], v[38:39] neg_lo:[0,0,1] neg_hi:[0,0,1]
	v_mov_b32_e32 v31, v12
	v_pk_mul_f32 v[20:21], v[4:5], s[10:11]
	s_mov_b32 s4, s11
	s_mov_b32 s5, s10
	v_pk_add_f32 v[44:45], v[44:45], v[2:3]
	v_mov_b32_e32 v49, v43
	v_pk_add_f32 v[48:49], v[48:49], v[44:45]
	v_pk_fma_f32 v[44:45], v[30:31], s[4:5], v[20:21]
	v_pk_fma_f32 v[50:51], v[30:31], s[4:5], v[20:21] neg_lo:[0,0,1] neg_hi:[0,0,1]
	s_mov_b32 s36, 0xbf6f5d39
	v_mov_b32_e32 v51, v45
	v_mov_b32_e32 v94, v6
	;; [unrolled: 1-line block ×3, first 2 shown]
	s_mov_b32 s37, 0xbeb58ec6
	v_pk_add_f32 v[52:53], v[50:51], v[48:49]
	v_mov_b32_e32 v95, v14
	s_mov_b32 s26, s37
	s_mov_b32 s27, s36
	v_pk_mul_f32 v[48:49], v[6:7], s[36:37]
	s_mov_b32 s24, 0xbf29c268
	v_pk_fma_f32 v[50:51], v[94:95], s[26:27], v[48:49]
	v_pk_fma_f32 v[56:57], v[94:95], s[26:27], v[48:49] neg_lo:[0,0,1] neg_hi:[0,0,1]
	v_mov_b32_e32 v98, v10
	v_mov_b32_e32 v10, v17
	s_mov_b32 s25, 0xbf3f9e67
	v_mov_b32_e32 v57, v51
	v_mov_b32_e32 v99, v16
	s_mov_b32 s28, s25
	s_mov_b32 s29, s24
	v_pk_mul_f32 v[62:63], v[10:11], s[24:25]
	s_mov_b32 s22, 0xbe750f2a
	v_pk_add_f32 v[52:53], v[56:57], v[52:53]
	v_pk_fma_f32 v[64:65], v[98:99], s[28:29], v[62:63]
	v_pk_fma_f32 v[56:57], v[98:99], s[28:29], v[62:63] neg_lo:[0,0,1] neg_hi:[0,0,1]
	v_mov_b32_e32 v104, v8
	v_mov_b32_e32 v8, v19
	s_mov_b32 s23, 0xbf788fa5
	v_and_b32_e32 v0, 32, v0
	v_mov_b32_e32 v57, v65
	v_mov_b32_e32 v105, v18
	s_mov_b32 s34, s23
	s_mov_b32 s35, s22
	v_pk_mul_f32 v[76:77], v[8:9], s[22:23]
	v_mov_b32_e32 v1, 0x1a0
	v_cmp_ne_u32_e64 s[0:1], 0, v0
	v_pk_add_f32 v[52:53], v[56:57], v[52:53]
	v_pk_fma_f32 v[78:79], v[104:105], s[34:35], v[76:77]
	v_pk_fma_f32 v[56:57], v[104:105], s[34:35], v[76:77] neg_lo:[0,0,1] neg_hi:[0,0,1]
	v_cndmask_b32_e64 v37, 0, v1, s[0:1]
	v_mov_b32_e32 v57, v79
	s_movk_i32 s0, 0x68
	v_lshl_add_u32 v45, v37, 3, 0
	v_pk_add_f32 v[52:53], v[56:57], v[52:53]
	v_mad_u32_u24 v43, v114, s0, v45
	s_mov_b32 s42, s37
	v_pk_mul_f32 v[0:1], v[68:69], s[36:37] op_sel_hi:[1,0]
	ds_write2_b64 v43, v[46:47], v[52:53] offset1:1
	v_mov_b32_e32 v46, v28
	v_mov_b32_e32 v47, v23
	v_pk_fma_f32 v[52:53], v[66:67], s[42:43], v[0:1] op_sel:[0,0,1] op_sel_hi:[1,0,0] neg_lo:[0,0,1] neg_hi:[0,0,1]
	v_pk_fma_f32 v[0:1], v[66:67], s[42:43], v[0:1] op_sel:[0,0,1] op_sel_hi:[1,0,0]
	v_mov_b32_e32 v56, v52
	v_mov_b32_e32 v57, v1
	v_pk_add_f32 v[46:47], v[46:47], v[2:3]
	v_pk_mul_f32 v[58:59], v[30:31], s[34:35]
	v_pk_add_f32 v[56:57], v[56:57], v[46:47]
	v_pk_fma_f32 v[70:71], v[12:13], s[22:23], v[58:59] op_sel:[1,0,0] neg_lo:[1,0,0] neg_hi:[1,0,0]
	v_pk_fma_f32 v[46:47], v[4:5], s[22:23], v[58:59]
	s_mov_b32 s0, 0x3f29c268
	v_mov_b32_e32 v71, v47
	s_mov_b32 s30, s25
	s_mov_b32 s31, s0
	v_pk_add_f32 v[72:73], v[70:71], v[56:57]
	s_mov_b32 s1, s25
	v_pk_mul_f32 v[70:71], v[94:95], s[30:31]
	s_mov_b32 s30, 0x3f7e222b
	v_pk_fma_f32 v[74:75], v[14:15], s[0:1], v[70:71] op_sel:[1,0,0] neg_lo:[1,0,0] neg_hi:[1,0,0]
	v_pk_fma_f32 v[56:57], v[6:7], s[0:1], v[70:71]
	s_mov_b32 s40, s11
	s_mov_b32 s41, s30
	v_mov_b32_e32 v75, v57
	s_mov_b32 s31, s11
	v_pk_mul_f32 v[80:81], v[98:99], s[40:41]
	v_pk_add_f32 v[74:75], v[74:75], v[72:73]
	v_pk_fma_f32 v[82:83], v[16:17], s[30:31], v[80:81] op_sel:[1,0,0] neg_lo:[1,0,0] neg_hi:[1,0,0]
	v_pk_fma_f32 v[72:73], v[10:11], s[30:31], v[80:81]
	s_mov_b32 s14, 0x3eedf032
	v_mov_b32_e32 v83, v73
	s_mov_b32 s44, s15
	s_mov_b32 s45, s14
	v_pk_add_f32 v[84:85], v[82:83], v[74:75]
	v_pk_mul_f32 v[82:83], v[104:105], s[44:45]
	s_mov_b32 s50, s11
	v_pk_fma_f32 v[86:87], v[18:19], s[14:15], v[82:83] op_sel:[1,0,0] neg_lo:[1,0,0] neg_hi:[1,0,0]
	v_pk_fma_f32 v[74:75], v[8:9], s[14:15], v[82:83]
	s_mov_b32 s46, s23
	v_mov_b32_e32 v87, v75
	v_pk_add_f32 v[122:123], v[86:87], v[84:85]
	v_pk_mul_f32 v[84:85], v[60:61], s[10:11] op_sel_hi:[1,0]
	v_pk_mul_f32 v[88:89], v[68:69], s[22:23] op_sel_hi:[1,0]
	v_pk_fma_f32 v[86:87], v[54:55], s[50:51], v[84:85] op_sel:[0,0,1] op_sel_hi:[1,0,0] neg_lo:[0,0,1] neg_hi:[0,0,1]
	v_pk_fma_f32 v[84:85], v[54:55], s[50:51], v[84:85] op_sel:[0,0,1] op_sel_hi:[1,0,0]
	s_mov_b32 s38, 0x3f6f5d39
	v_mov_b32_e32 v92, v86
	v_mov_b32_e32 v93, v85
	v_pk_fma_f32 v[90:91], v[66:67], s[46:47], v[88:89] op_sel:[0,0,1] op_sel_hi:[1,0,0] neg_lo:[0,0,1] neg_hi:[0,0,1]
	v_pk_fma_f32 v[88:89], v[66:67], s[46:47], v[88:89] op_sel:[0,0,1] op_sel_hi:[1,0,0]
	s_mov_b32 s48, s37
	s_mov_b32 s49, s38
	v_mov_b32_e32 v96, v90
	v_mov_b32_e32 v97, v89
	v_pk_add_f32 v[92:93], v[92:93], v[2:3]
	s_mov_b32 s39, s37
	v_pk_mul_f32 v[106:107], v[30:31], s[48:49]
	v_pk_add_f32 v[96:97], v[96:97], v[92:93]
	v_pk_fma_f32 v[100:101], v[12:13], s[38:39], v[106:107] op_sel:[1,0,0] neg_lo:[1,0,0] neg_hi:[1,0,0]
	v_pk_fma_f32 v[92:93], v[4:5], s[38:39], v[106:107]
	v_pk_mul_f32 v[108:109], v[94:95], s[44:45]
	v_mov_b32_e32 v101, v93
	v_pk_add_f32 v[100:101], v[100:101], v[96:97]
	v_pk_fma_f32 v[102:103], v[14:15], s[14:15], v[108:109] op_sel:[1,0,0] neg_lo:[1,0,0] neg_hi:[1,0,0]
	v_pk_fma_f32 v[96:97], v[6:7], s[14:15], v[108:109]
	v_pk_mul_f32 v[110:111], v[98:99], s[18:19]
	v_mov_b32_e32 v103, v97
	v_pk_add_f32 v[102:103], v[102:103], v[100:101]
	v_pk_fma_f32 v[112:113], v[16:17], s[12:13], v[110:111] op_sel:[1,0,0] neg_lo:[1,0,0] neg_hi:[1,0,0]
	v_pk_fma_f32 v[100:101], v[10:11], s[12:13], v[110:111]
	s_mov_b32 s54, s25
	v_mov_b32_e32 v113, v101
	v_pk_add_f32 v[124:125], v[112:113], v[102:103]
	v_pk_mul_f32 v[112:113], v[104:105], s[28:29]
	v_pk_mul_f32 v[128:129], v[68:69], s[0:1] op_sel_hi:[1,0]
	v_pk_fma_f32 v[126:127], v[18:19], s[24:25], v[112:113] op_sel:[1,0,0] neg_lo:[1,0,0] neg_hi:[1,0,0]
	v_pk_fma_f32 v[102:103], v[8:9], s[24:25], v[112:113]
	v_pk_fma_f32 v[130:131], v[66:67], s[54:55], v[128:129] op_sel:[0,0,1] op_sel_hi:[1,0,0] neg_lo:[0,0,1] neg_hi:[0,0,1]
	v_mov_b32_e32 v127, v103
	v_pk_add_f32 v[124:125], v[126:127], v[124:125]
	ds_write2_b64 v43, v[122:123], v[124:125] offset0:2 offset1:3
	v_pk_mul_f32 v[122:123], v[60:61], s[36:37] op_sel_hi:[1,0]
	v_pk_fma_f32 v[128:129], v[66:67], s[54:55], v[128:129] op_sel:[0,0,1] op_sel_hi:[1,0,0]
	v_pk_fma_f32 v[124:125], v[54:55], s[42:43], v[122:123] op_sel:[0,0,1] op_sel_hi:[1,0,0] neg_lo:[0,0,1] neg_hi:[0,0,1]
	v_pk_fma_f32 v[122:123], v[54:55], s[42:43], v[122:123] op_sel:[0,0,1] op_sel_hi:[1,0,0]
	v_mov_b32_e32 v126, v124
	v_mov_b32_e32 v127, v123
	;; [unrolled: 1-line block ×4, first 2 shown]
	v_pk_add_f32 v[126:127], v[126:127], v[2:3]
	s_mov_b32 s42, 0x3e750f2a
	v_pk_add_f32 v[126:127], v[132:133], v[126:127]
	v_pk_mul_f32 v[132:133], v[30:31], s[44:45]
	s_mov_b32 s56, s23
	v_pk_fma_f32 v[134:135], v[12:13], s[14:15], v[132:133] op_sel:[1,0,0] neg_lo:[1,0,0] neg_hi:[1,0,0]
	v_pk_fma_f32 v[136:137], v[4:5], s[14:15], v[132:133]
	s_mov_b32 s57, s42
	v_mov_b32_e32 v135, v137
	v_pk_add_f32 v[126:127], v[134:135], v[126:127]
	v_pk_mul_f32 v[134:135], v[94:95], s[4:5]
	s_mov_b32 s43, s23
	v_pk_fma_f32 v[138:139], v[14:15], s[10:11], v[134:135] op_sel:[1,0,0] neg_lo:[1,0,0] neg_hi:[1,0,0]
	v_pk_fma_f32 v[140:141], v[6:7], s[10:11], v[134:135]
	s_mov_b32 s48, 0x3f52af12
	v_mov_b32_e32 v139, v141
	;; [unrolled: 7-line block ×3, first 2 shown]
	v_pk_add_f32 v[126:127], v[142:143], v[126:127]
	s_mov_b32 s49, s18
	v_pk_mul_f32 v[142:143], v[104:105], s[52:53]
	v_pk_mul_f32 v[154:155], v[68:69], s[30:31] op_sel_hi:[1,0]
	v_pk_fma_f32 v[146:147], v[18:19], s[48:49], v[142:143] op_sel:[1,0,0] neg_lo:[1,0,0] neg_hi:[1,0,0]
	v_pk_fma_f32 v[148:149], v[8:9], s[48:49], v[142:143]
	v_pk_fma_f32 v[156:157], v[66:67], s[50:51], v[154:155] op_sel:[0,0,1] op_sel_hi:[1,0,0] neg_lo:[0,0,1] neg_hi:[0,0,1]
	v_mov_b32_e32 v147, v149
	v_pk_add_f32 v[126:127], v[146:147], v[126:127]
	v_pk_mul_f32 v[146:147], v[60:61], s[24:25] op_sel_hi:[1,0]
	v_pk_fma_f32 v[154:155], v[66:67], s[50:51], v[154:155] op_sel:[0,0,1] op_sel_hi:[1,0,0]
	v_pk_fma_f32 v[150:151], v[54:55], s[54:55], v[146:147] op_sel:[0,0,1] op_sel_hi:[1,0,0] neg_lo:[0,0,1] neg_hi:[0,0,1]
	v_pk_fma_f32 v[146:147], v[54:55], s[54:55], v[146:147] op_sel:[0,0,1] op_sel_hi:[1,0,0]
	v_mov_b32_e32 v152, v150
	v_mov_b32_e32 v153, v147
	;; [unrolled: 1-line block ×4, first 2 shown]
	v_pk_add_f32 v[152:153], v[152:153], v[2:3]
	v_pk_mul_f32 v[60:61], v[60:61], s[22:23] op_sel_hi:[1,0]
	v_pk_add_f32 v[152:153], v[158:159], v[152:153]
	v_pk_mul_f32 v[158:159], v[30:31], s[18:19]
	v_pk_mul_f32 v[30:31], v[30:31], s[28:29]
	v_pk_fma_f32 v[160:161], v[12:13], s[12:13], v[158:159] op_sel:[1,0,0] neg_lo:[1,0,0] neg_hi:[1,0,0]
	v_pk_fma_f32 v[162:163], v[4:5], s[12:13], v[158:159]
	v_mov_b32_e32 v147, v151
	v_mov_b32_e32 v161, v163
	v_pk_add_f32 v[152:153], v[160:161], v[152:153]
	v_pk_mul_f32 v[160:161], v[94:95], s[56:57]
	v_pk_mul_f32 v[94:95], v[94:95], s[52:53]
	v_pk_fma_f32 v[164:165], v[14:15], s[42:43], v[160:161] op_sel:[1,0,0] neg_lo:[1,0,0] neg_hi:[1,0,0]
	v_pk_fma_f32 v[166:167], v[6:7], s[42:43], v[160:161]
	v_pk_fma_f32 v[176:177], v[6:7], s[48:49], v[94:95]
	v_mov_b32_e32 v165, v167
	v_pk_add_f32 v[152:153], v[164:165], v[152:153]
	v_pk_mul_f32 v[164:165], v[98:99], s[44:45]
	v_pk_mul_f32 v[98:99], v[98:99], s[26:27]
	v_pk_fma_f32 v[168:169], v[16:17], s[14:15], v[164:165] op_sel:[1,0,0] neg_lo:[1,0,0] neg_hi:[1,0,0]
	v_pk_fma_f32 v[170:171], v[10:11], s[14:15], v[164:165]
	v_pk_fma_f32 v[178:179], v[10:11], s[36:37], v[98:99]
	v_mov_b32_e32 v169, v171
	v_pk_add_f32 v[152:153], v[168:169], v[152:153]
	v_pk_mul_f32 v[168:169], v[104:105], s[26:27]
	v_pk_mul_f32 v[104:105], v[104:105], s[40:41]
	v_pk_fma_f32 v[172:173], v[18:19], s[36:37], v[168:169] op_sel:[1,0,0] neg_lo:[1,0,0] neg_hi:[1,0,0]
	v_pk_fma_f32 v[174:175], v[8:9], s[36:37], v[168:169]
	v_pk_fma_f32 v[180:181], v[8:9], s[30:31], v[104:105]
	v_mov_b32_e32 v173, v175
	v_pk_add_f32 v[152:153], v[172:173], v[152:153]
	ds_write2_b64 v43, v[126:127], v[152:153] offset0:4 offset1:5
	v_pk_fma_f32 v[126:127], v[54:55], s[46:47], v[60:61] op_sel:[0,0,1] op_sel_hi:[1,0,0] neg_lo:[0,0,1] neg_hi:[0,0,1]
	v_pk_fma_f32 v[54:55], v[54:55], s[46:47], v[60:61] op_sel:[0,0,1] op_sel_hi:[1,0,0]
	v_pk_mul_f32 v[60:61], v[68:69], s[14:15] op_sel_hi:[1,0]
	v_pk_fma_f32 v[172:173], v[4:5], s[24:25], v[30:31]
	v_pk_fma_f32 v[68:69], v[66:67], s[44:45], v[60:61] op_sel:[0,0,1] op_sel_hi:[1,0,0] neg_lo:[0,0,1] neg_hi:[0,0,1]
	v_pk_fma_f32 v[60:61], v[66:67], s[44:45], v[60:61] op_sel:[0,0,1] op_sel_hi:[1,0,0]
	v_mov_b32_e32 v66, v126
	v_mov_b32_e32 v67, v55
	;; [unrolled: 1-line block ×4, first 2 shown]
	v_pk_add_f32 v[66:67], v[66:67], v[2:3]
	v_mov_b32_e32 v55, v127
	v_pk_add_f32 v[66:67], v[152:153], v[66:67]
	v_pk_fma_f32 v[152:153], v[12:13], s[24:25], v[30:31] op_sel:[1,0,0] neg_lo:[1,0,0] neg_hi:[1,0,0]
	v_pk_fma_f32 v[30:31], v[4:5], s[24:25], v[30:31] neg_lo:[0,0,1] neg_hi:[0,0,1]
	v_mov_b32_e32 v153, v173
	v_pk_add_f32 v[66:67], v[152:153], v[66:67]
	v_pk_fma_f32 v[152:153], v[14:15], s[48:49], v[94:95] op_sel:[1,0,0] neg_lo:[1,0,0] neg_hi:[1,0,0]
	v_mov_b32_e32 v173, v31
	v_mov_b32_e32 v153, v177
	v_pk_add_f32 v[66:67], v[152:153], v[66:67]
	v_pk_fma_f32 v[152:153], v[16:17], s[36:37], v[98:99] op_sel:[1,0,0] neg_lo:[1,0,0] neg_hi:[1,0,0]
	v_pk_fma_f32 v[30:31], v[6:7], s[48:49], v[94:95] neg_lo:[0,0,1] neg_hi:[0,0,1]
	v_mov_b32_e32 v153, v179
	v_mov_b32_e32 v177, v31
	v_pk_fma_f32 v[30:31], v[10:11], s[36:37], v[98:99] neg_lo:[0,0,1] neg_hi:[0,0,1]
	v_pk_add_f32 v[66:67], v[152:153], v[66:67]
	v_pk_fma_f32 v[152:153], v[18:19], s[30:31], v[104:105] op_sel:[1,0,0] neg_lo:[1,0,0] neg_hi:[1,0,0]
	v_mov_b32_e32 v179, v31
	v_pk_fma_f32 v[30:31], v[8:9], s[30:31], v[104:105] neg_lo:[0,0,1] neg_hi:[0,0,1]
	v_mov_b32_e32 v153, v181
	v_mov_b32_e32 v181, v31
	;; [unrolled: 1-line block ×3, first 2 shown]
	v_pk_add_f32 v[30:31], v[54:55], v[2:3]
	v_pk_add_f32 v[66:67], v[152:153], v[66:67]
	;; [unrolled: 1-line block ×3, first 2 shown]
	v_pk_fma_f32 v[54:55], v[4:5], s[14:15], v[132:133] neg_lo:[0,0,1] neg_hi:[0,0,1]
	v_pk_add_f32 v[30:31], v[172:173], v[30:31]
	v_mov_b32_e32 v137, v55
	v_pk_add_f32 v[30:31], v[176:177], v[30:31]
	v_pk_fma_f32 v[54:55], v[6:7], s[10:11], v[134:135] neg_lo:[0,0,1] neg_hi:[0,0,1]
	v_pk_add_f32 v[30:31], v[178:179], v[30:31]
	v_mov_b32_e32 v141, v55
	v_pk_add_f32 v[30:31], v[180:181], v[30:31]
	ds_write2_b64 v43, v[66:67], v[30:31] offset0:6 offset1:7
	v_pk_fma_f32 v[30:31], v[4:5], s[12:13], v[158:159] neg_lo:[0,0,1] neg_hi:[0,0,1]
	v_pk_fma_f32 v[54:55], v[10:11], s[42:43], v[138:139] neg_lo:[0,0,1] neg_hi:[0,0,1]
	v_mov_b32_e32 v163, v31
	v_pk_fma_f32 v[30:31], v[6:7], s[42:43], v[160:161] neg_lo:[0,0,1] neg_hi:[0,0,1]
	v_mov_b32_e32 v145, v55
	v_mov_b32_e32 v167, v31
	v_pk_fma_f32 v[30:31], v[10:11], s[14:15], v[164:165] neg_lo:[0,0,1] neg_hi:[0,0,1]
	v_pk_fma_f32 v[54:55], v[8:9], s[48:49], v[142:143] neg_lo:[0,0,1] neg_hi:[0,0,1]
	v_mov_b32_e32 v171, v31
	v_pk_fma_f32 v[30:31], v[8:9], s[36:37], v[168:169] neg_lo:[0,0,1] neg_hi:[0,0,1]
	v_mov_b32_e32 v123, v125
	v_mov_b32_e32 v175, v31
	;; [unrolled: 1-line block ×3, first 2 shown]
	v_pk_add_f32 v[30:31], v[146:147], v[2:3]
	v_mov_b32_e32 v149, v55
	v_mov_b32_e32 v129, v131
	v_pk_add_f32 v[54:55], v[122:123], v[2:3]
	v_pk_add_f32 v[30:31], v[154:155], v[30:31]
	;; [unrolled: 1-line block ×11, first 2 shown]
	v_pk_fma_f32 v[12:13], v[12:13], s[4:5], v[20:21] op_sel_hi:[0,1,1] neg_lo:[1,0,0] neg_hi:[1,0,0]
	v_pk_fma_f32 v[20:21], v[34:35], s[20:21], v[32:33] neg_lo:[1,0,0] neg_hi:[1,0,0]
	ds_write2_b64 v43, v[30:31], v[54:55] offset0:8 offset1:9
	v_mov_b32_e32 v20, v36
	v_pk_fma_f32 v[30:31], v[40:41], s[18:19], v[38:39] neg_lo:[1,0,0] neg_hi:[1,0,0]
	v_pk_add_f32 v[20:21], v[20:21], v[2:3]
	v_mov_b32_e32 v30, v42
	v_mov_b32_e32 v12, v44
	v_pk_fma_f32 v[14:15], v[14:15], s[26:27], v[48:49] op_sel_hi:[0,1,1] neg_lo:[1,0,0] neg_hi:[1,0,0]
	v_pk_add_f32 v[20:21], v[30:31], v[20:21]
	v_mov_b32_e32 v14, v50
	v_pk_fma_f32 v[16:17], v[16:17], s[28:29], v[62:63] op_sel_hi:[0,1,1] neg_lo:[1,0,0] neg_hi:[1,0,0]
	v_pk_add_f32 v[12:13], v[12:13], v[20:21]
	;; [unrolled: 3-line block ×3, first 2 shown]
	v_mov_b32_e32 v18, v78
	v_pk_add_f32 v[12:13], v[16:17], v[12:13]
	v_mov_b32_e32 v85, v87
	v_pk_add_f32 v[18:19], v[18:19], v[12:13]
	v_pk_fma_f32 v[12:13], v[4:5], s[38:39], v[106:107] neg_lo:[0,0,1] neg_hi:[0,0,1]
	v_mov_b32_e32 v23, v29
	v_mov_b32_e32 v93, v13
	v_pk_fma_f32 v[12:13], v[6:7], s[14:15], v[108:109] neg_lo:[0,0,1] neg_hi:[0,0,1]
	v_mov_b32_e32 v89, v91
	v_mov_b32_e32 v97, v13
	;; [unrolled: 3-line block ×3, first 2 shown]
	v_pk_fma_f32 v[12:13], v[8:9], s[24:25], v[112:113] neg_lo:[0,0,1] neg_hi:[0,0,1]
	v_pk_fma_f32 v[4:5], v[4:5], s[22:23], v[58:59] neg_lo:[0,0,1] neg_hi:[0,0,1]
	v_mov_b32_e32 v103, v13
	v_pk_add_f32 v[12:13], v[84:85], v[2:3]
	v_pk_add_f32 v[2:3], v[22:23], v[2:3]
	;; [unrolled: 1-line block ×3, first 2 shown]
	v_mov_b32_e32 v47, v5
	v_pk_fma_f32 v[4:5], v[6:7], s[0:1], v[70:71] neg_lo:[0,0,1] neg_hi:[0,0,1]
	v_pk_add_f32 v[0:1], v[0:1], v[2:3]
	v_pk_add_f32 v[12:13], v[92:93], v[12:13]
	v_mov_b32_e32 v57, v5
	v_pk_fma_f32 v[4:5], v[10:11], s[30:31], v[80:81] neg_lo:[0,0,1] neg_hi:[0,0,1]
	v_pk_add_f32 v[0:1], v[46:47], v[0:1]
	v_pk_add_f32 v[12:13], v[96:97], v[12:13]
	v_mov_b32_e32 v73, v5
	v_pk_add_f32 v[0:1], v[56:57], v[0:1]
	v_pk_fma_f32 v[2:3], v[8:9], s[14:15], v[82:83] neg_lo:[0,0,1] neg_hi:[0,0,1]
	v_pk_add_f32 v[12:13], v[100:101], v[12:13]
	v_pk_add_f32 v[0:1], v[72:73], v[0:1]
	v_mov_b32_e32 v75, v3
	v_pk_add_f32 v[12:13], v[102:103], v[12:13]
	v_pk_add_f32 v[0:1], v[74:75], v[0:1]
	s_movk_i32 s0, 0xffa0
	s_load_dwordx2 s[4:5], s[2:3], 0x0
	ds_write2_b64 v43, v[12:13], v[0:1] offset0:10 offset1:11
	ds_write_b64 v43, v[18:19] offset:96
	v_mad_i32_i24 v43, v114, s0, v43
	v_lshl_add_u32 v4, v115, 3, v45
	v_add_u32_e32 v10, 0x800, v43
	v_lshl_add_u32 v11, v117, 3, v45
	v_lshl_add_u32 v12, v119, 3, v45
	s_waitcnt lgkmcnt(0)
	; wave barrier
	s_waitcnt lgkmcnt(0)
	ds_read2_b64 v[0:3], v43 offset0:208 offset1:240
	v_lshl_add_u32 v5, v116, 3, v45
	ds_read2_b64 v[6:9], v10 offset0:16 offset1:48
	ds_read_b64 v[20:21], v4
	ds_read_b64 v[22:23], v5
	ds_read_b64 v[32:33], v11
	ds_read_b64 v[14:15], v12
	ds_read2_b64 v[10:13], v10 offset0:80 offset1:112
	v_lshl_add_u32 v42, v114, 3, v45
	v_lshl_add_u32 v16, v118, 3, v45
	ds_read_b64 v[4:5], v42
	ds_read_b64 v[34:35], v16
	v_cmp_gt_u32_e64 s[0:1], 16, v114
	v_lshlrev_b32_e32 v44, 3, v37
                                        ; implicit-def: $vgpr17
	s_and_saveexec_b64 s[2:3], s[0:1]
	s_cbranch_execz .LBB0_15
; %bb.14:
	v_lshlrev_b32_e32 v16, 3, v120
	v_add3_u32 v16, 0, v16, v44
	ds_read_b64 v[18:19], v16
	ds_read_b64 v[16:17], v43 offset:3200
.LBB0_15:
	s_or_b64 exec, exec, s[2:3]
	s_movk_i32 s2, 0x4f
	v_mul_lo_u16_sdwa v28, v114, s2 dst_sel:DWORD dst_unused:UNUSED_PAD src0_sel:BYTE_0 src1_sel:DWORD
	v_lshrrev_b16_e32 v47, 10, v28
	v_mul_lo_u16_e32 v28, 13, v47
	v_sub_u16_e32 v28, v114, v28
	v_mov_b32_e32 v40, 3
	v_lshlrev_b32_sdwa v62, v40, v28 dst_sel:DWORD dst_unused:UNUSED_PAD src0_sel:DWORD src1_sel:BYTE_0
	v_mul_lo_u16_sdwa v28, v119, s2 dst_sel:DWORD dst_unused:UNUSED_PAD src0_sel:BYTE_0 src1_sel:DWORD
	v_lshrrev_b16_e32 v63, 10, v28
	v_mul_lo_u16_e32 v28, 13, v63
	v_sub_u16_e32 v28, v119, v28
	v_lshlrev_b32_sdwa v64, v40, v28 dst_sel:DWORD dst_unused:UNUSED_PAD src0_sel:DWORD src1_sel:BYTE_0
	v_mul_lo_u16_sdwa v28, v118, s2 dst_sel:DWORD dst_unused:UNUSED_PAD src0_sel:BYTE_0 src1_sel:DWORD
	v_lshrrev_b16_e32 v65, 10, v28
	v_mul_lo_u16_e32 v28, 13, v65
	v_sub_u16_e32 v38, v118, v28
	v_mul_lo_u16_sdwa v28, v120, s2 dst_sel:DWORD dst_unused:UNUSED_PAD src0_sel:BYTE_0 src1_sel:DWORD
	v_lshrrev_b16_e32 v45, 10, v28
	v_mul_lo_u16_e32 v28, 13, v45
	v_mul_lo_u16_sdwa v41, v116, s2 dst_sel:DWORD dst_unused:UNUSED_PAD src0_sel:BYTE_0 src1_sel:DWORD
	v_mul_lo_u16_sdwa v48, v117, s2 dst_sel:DWORD dst_unused:UNUSED_PAD src0_sel:BYTE_0 src1_sel:DWORD
	v_sub_u16_e32 v36, v120, v28
	global_load_dwordx2 v[28:29], v62, s[8:9]
	global_load_dwordx2 v[30:31], v64, s[8:9]
	v_lshrrev_b16_e32 v67, 10, v48
	v_lshrrev_b16_e32 v69, 10, v41
	v_lshlrev_b32_sdwa v46, v40, v36 dst_sel:DWORD dst_unused:UNUSED_PAD src0_sel:DWORD src1_sel:BYTE_0
	v_mul_lo_u16_e32 v48, 13, v67
	v_mul_lo_u16_e32 v41, 13, v69
	global_load_dwordx2 v[36:37], v46, s[8:9]
	v_lshlrev_b32_sdwa v66, v40, v38 dst_sel:DWORD dst_unused:UNUSED_PAD src0_sel:DWORD src1_sel:BYTE_0
	global_load_dwordx2 v[38:39], v66, s[8:9]
	v_sub_u16_e32 v48, v117, v48
	v_sub_u16_e32 v41, v116, v41
	v_lshlrev_b32_sdwa v68, v40, v48 dst_sel:DWORD dst_unused:UNUSED_PAD src0_sel:DWORD src1_sel:BYTE_0
	global_load_dwordx2 v[48:49], v68, s[8:9]
	v_lshlrev_b32_sdwa v70, v40, v41 dst_sel:DWORD dst_unused:UNUSED_PAD src0_sel:DWORD src1_sel:BYTE_0
	global_load_dwordx2 v[50:51], v70, s[8:9]
	v_mul_lo_u16_sdwa v41, v115, s2 dst_sel:DWORD dst_unused:UNUSED_PAD src0_sel:BYTE_0 src1_sel:DWORD
	v_lshrrev_b16_e32 v71, 10, v41
	v_mul_lo_u16_e32 v41, 13, v71
	v_sub_u16_e32 v41, v115, v41
	v_lshlrev_b32_sdwa v72, v40, v41 dst_sel:DWORD dst_unused:UNUSED_PAD src0_sel:DWORD src1_sel:BYTE_0
	global_load_dwordx2 v[52:53], v72, s[8:9]
	s_movk_i32 s10, 0xd0
	s_waitcnt lgkmcnt(2)
	v_mov_b32_e32 v40, v11
	v_mov_b32_e32 v41, v10
	v_mad_u32_u24 v11, v47, s10, 0
	v_mad_u32_u24 v63, v63, s10, 0
	;; [unrolled: 1-line block ×3, first 2 shown]
	v_add3_u32 v73, v11, v62, v44
	v_add3_u32 v75, v63, v64, v44
	;; [unrolled: 1-line block ×3, first 2 shown]
	v_mad_u32_u24 v47, v71, s10, 0
	v_mad_u32_u24 v69, v69, s10, 0
	;; [unrolled: 1-line block ×3, first 2 shown]
	v_mov_b32_e32 v58, v14
	s_waitcnt lgkmcnt(1)
	v_mov_b32_e32 v59, v18
	v_add3_u32 v47, v47, v72, v44
	v_add3_u32 v72, v69, v70, v44
	;; [unrolled: 1-line block ×3, first 2 shown]
	v_mov_b32_e32 v55, v32
	v_mov_b32_e32 v57, v33
	;; [unrolled: 1-line block ×6, first 2 shown]
	s_waitcnt lgkmcnt(0)
	; wave barrier
	s_waitcnt vmcnt(6) lgkmcnt(0)
	v_pk_mul_f32 v[66:67], v[28:29], v[0:1] op_sel:[1,1] op_sel_hi:[0,1]
	s_waitcnt vmcnt(5)
	v_mov_b32_e32 v62, v31
	v_pk_mul_f32 v[64:65], v[30:31], v[40:41]
	v_pk_mul_f32 v[62:63], v[62:63], v[40:41]
	v_mov_b32_e32 v64, v65
	v_pk_fma_f32 v[10:11], v[30:31], v[10:11], v[62:63] op_sel_hi:[1,0,1] neg_lo:[0,0,1] neg_hi:[0,0,1]
	v_pk_fma_f32 v[30:31], v[30:31], v[40:41], v[64:65]
	s_waitcnt vmcnt(4)
	v_mul_f32_e32 v77, v17, v37
	v_fma_f32 v11, v16, v36, -v77
	s_waitcnt vmcnt(3)
	v_pk_mul_f32 v[68:69], v[38:39], v[12:13] op_sel:[0,1]
	v_mul_f32_e32 v31, v16, v37
	v_pk_fma_f32 v[70:71], v[28:29], v[0:1], v[66:67] neg_lo:[0,0,1] neg_hi:[0,0,1]
	v_pk_fma_f32 v[0:1], v[28:29], v[0:1], v[66:67] op_sel_hi:[1,0,1]
	v_pk_fma_f32 v[66:67], v[38:39], v[12:13], v[68:69] op_sel:[0,0,1] op_sel_hi:[1,1,0] neg_lo:[0,0,1] neg_hi:[0,0,1]
	v_pk_fma_f32 v[12:13], v[38:39], v[12:13], v[68:69] op_sel:[0,0,1] op_sel_hi:[1,0,0]
	v_fmac_f32_e32 v31, v17, v36
	v_pk_add_f32 v[16:17], v[58:59], v[10:11] neg_lo:[0,1] neg_hi:[0,1]
	s_waitcnt vmcnt(2)
	v_pk_mul_f32 v[10:11], v[48:49], v[8:9] op_sel:[0,1]
	v_mov_b32_e32 v67, v13
	v_pk_fma_f32 v[12:13], v[48:49], v[8:9], v[10:11] op_sel:[0,0,1] op_sel_hi:[1,1,0] neg_lo:[0,0,1] neg_hi:[0,0,1]
	v_pk_fma_f32 v[8:9], v[48:49], v[8:9], v[10:11] op_sel:[0,0,1] op_sel_hi:[1,0,0]
	v_mov_b32_e32 v71, v1
	v_mov_b32_e32 v13, v9
	s_waitcnt vmcnt(1)
	v_pk_mul_f32 v[8:9], v[50:51], v[6:7] op_sel:[0,1]
	v_pk_add_f32 v[32:33], v[32:33], v[12:13] neg_lo:[0,1] neg_hi:[0,1]
	v_pk_fma_f32 v[10:11], v[50:51], v[6:7], v[8:9] op_sel:[0,0,1] op_sel_hi:[1,1,0] neg_lo:[0,0,1] neg_hi:[0,0,1]
	v_pk_fma_f32 v[6:7], v[50:51], v[6:7], v[8:9] op_sel:[0,0,1] op_sel_hi:[1,0,0]
	v_pk_add_f32 v[0:1], v[4:5], v[70:71] neg_lo:[0,1] neg_hi:[0,1]
	v_mov_b32_e32 v11, v7
	s_waitcnt vmcnt(0)
	v_pk_mul_f32 v[6:7], v[52:53], v[2:3] op_sel:[0,1]
	v_pk_add_f32 v[8:9], v[22:23], v[10:11] neg_lo:[0,1] neg_hi:[0,1]
	v_pk_fma_f32 v[10:11], v[52:53], v[2:3], v[6:7] op_sel:[0,0,1] op_sel_hi:[1,1,0] neg_lo:[0,0,1] neg_hi:[0,0,1]
	v_pk_fma_f32 v[2:3], v[52:53], v[2:3], v[6:7] op_sel:[0,0,1] op_sel_hi:[1,0,0]
	v_mov_b32_e32 v13, v33
	v_mov_b32_e32 v11, v3
	v_pk_add_f32 v[6:7], v[20:21], v[10:11] neg_lo:[0,1] neg_hi:[0,1]
	v_mov_b32_e32 v3, v32
	v_mov_b32_e32 v2, v6
	v_mov_b32_e32 v12, v7
	v_pk_fma_f32 v[28:29], v[4:5], 2.0, v[0:1] op_sel_hi:[1,0,1] neg_lo:[0,0,1] neg_hi:[0,0,1]
	v_pk_add_f32 v[4:5], v[60:61], v[30:31] neg_lo:[0,1] neg_hi:[0,1]
	v_pk_fma_f32 v[38:39], v[54:55], 2.0, v[2:3] op_sel_hi:[1,0,1] neg_lo:[0,0,1] neg_hi:[0,0,1]
	v_pk_fma_f32 v[10:11], v[56:57], 2.0, v[12:13] op_sel_hi:[1,0,1] neg_lo:[0,0,1] neg_hi:[0,0,1]
	v_mov_b32_e32 v58, v16
	v_mov_b32_e32 v40, v17
	;; [unrolled: 1-line block ×4, first 2 shown]
	v_pk_add_f32 v[30:31], v[34:35], v[66:67] neg_lo:[0,1] neg_hi:[0,1]
	v_mov_b32_e32 v20, v38
	v_mov_b32_e32 v21, v10
	v_pk_fma_f32 v[14:15], v[14:15], 2.0, v[58:59] op_sel_hi:[1,0,1] neg_lo:[0,0,1] neg_hi:[0,0,1]
	v_pk_fma_f32 v[18:19], v[18:19], 2.0, v[40:41] op_sel_hi:[1,0,1] neg_lo:[0,0,1] neg_hi:[0,0,1]
	;; [unrolled: 1-line block ×4, first 2 shown]
	ds_write2_b64 v73, v[28:29], v[0:1] offset1:13
	ds_write2_b64 v47, v[20:21], v[6:7] offset1:13
	ds_write2_b64 v72, v[22:23], v[8:9] offset1:13
	v_mov_b32_e32 v6, v39
	v_mov_b32_e32 v7, v11
	ds_write2_b64 v74, v[6:7], v[32:33] offset1:13
	ds_write2_b64 v75, v[14:15], v[58:59] offset1:13
	;; [unrolled: 1-line block ×3, first 2 shown]
	s_and_saveexec_b64 s[2:3], s[0:1]
	s_cbranch_execz .LBB0_17
; %bb.16:
	v_mad_u32_u24 v6, v45, s10, 0
	v_add3_u32 v6, v6, v46, v44
	ds_write2_b64 v6, v[18:19], v[40:41] offset1:13
.LBB0_17:
	s_or_b64 exec, exec, s[2:3]
	v_cmp_gt_u32_e64 s[0:1], 26, v114
	v_cmp_lt_u32_e64 s[2:3], 25, v114
	s_waitcnt lgkmcnt(0)
	; wave barrier
	s_waitcnt lgkmcnt(0)
                                        ; implicit-def: $vgpr32_vgpr33
                                        ; implicit-def: $vgpr34_vgpr35
	s_and_saveexec_b64 s[10:11], s[2:3]
	s_xor_b64 s[2:3], exec, s[10:11]
; %bb.18:
	v_mov_b32_e32 v6, v37
	v_mov_b32_e32 v34, v31
	;; [unrolled: 1-line block ×4, first 2 shown]
                                        ; implicit-def: $vgpr42
                                        ; implicit-def: $vgpr43
; %bb.19:
	s_andn2_saveexec_b64 s[2:3], s[2:3]
	s_cbranch_execz .LBB0_21
; %bb.20:
	v_add_u32_e32 v4, 0x400, v43
	ds_read2_b64 v[0:3], v43 offset0:26 offset1:52
	ds_read2_b64 v[20:23], v43 offset0:78 offset1:104
	;; [unrolled: 1-line block ×5, first 2 shown]
	v_add_u32_e32 v4, 0x800, v43
	ds_read2_b64 v[16:19], v4 offset0:30 offset1:56
	ds_read2_b64 v[4:7], v4 offset0:82 offset1:108
	ds_read_b64 v[28:29], v42
	ds_read_b64 v[34:35], v43 offset:3120
	s_waitcnt lgkmcnt(8)
	v_mov_b32_e32 v32, v0
	s_waitcnt lgkmcnt(6)
	v_mov_b32_e32 v33, v8
	v_mov_b32_e32 v38, v2
	;; [unrolled: 1-line block ×4, first 2 shown]
	s_waitcnt lgkmcnt(4)
	v_mov_b32_e32 v36, v46
	s_waitcnt lgkmcnt(2)
	v_mov_b32_e32 v37, v6
	v_mov_b32_e32 v6, v47
	v_mov_b32_e32 v30, v16
	s_waitcnt lgkmcnt(0)
	v_mov_b32_e32 v31, v34
	v_mov_b32_e32 v34, v17
	;; [unrolled: 1-line block ×8, first 2 shown]
.LBB0_21:
	s_or_b64 exec, exec, s[2:3]
	v_cmp_gt_u32_e64 s[2:3], 26, v114
	s_and_b64 s[2:3], vcc, s[2:3]
	s_and_saveexec_b64 s[10:11], s[2:3]
	s_cbranch_execz .LBB0_23
; %bb.22:
	v_mul_lo_u32 v0, s5, v26
	v_mul_lo_u32 v27, s4, v27
	v_mad_u64_u32 v[20:21], s[2:3], s4, v26, 0
	v_add3_u32 v21, v21, v27, v0
	v_subrev_u32_e32 v0, 26, v114
	v_cndmask_b32_e64 v0, v0, v114, s[0:1]
	v_mul_i32_i24_e32 v26, 15, v0
	v_mov_b32_e32 v27, 0
	v_lshl_add_u64 v[26:27], v[26:27], 3, s[8:9]
	global_load_dwordx4 v[66:69], v[26:27], off offset:136
	global_load_dwordx4 v[70:73], v[26:27], off offset:152
	;; [unrolled: 1-line block ×5, first 2 shown]
	global_load_dwordx2 v[94:95], v[26:27], off offset:216
	global_load_dwordx4 v[86:89], v[26:27], off offset:168
	global_load_dwordx4 v[90:93], v[26:27], off offset:184
	v_mad_u64_u32 v[26:27], s[0:1], s16, v114, 0
	v_mov_b32_e32 v0, v27
	v_mad_u64_u32 v[40:41], s[0:1], s17, v114, v[0:1]
	v_lshl_add_u64 v[20:21], v[20:21], 3, s[6:7]
	v_mov_b32_e32 v27, v40
	v_lshl_add_u64 v[64:65], v[24:25], 3, v[20:21]
	v_lshl_add_u64 v[20:21], v[26:27], 3, v[64:65]
	v_add_u32_e32 v26, 26, v114
	v_mad_u64_u32 v[24:25], s[0:1], s16, v26, 0
	v_mov_b32_e32 v0, v25
	v_mad_u64_u32 v[26:27], s[0:1], s17, v26, v[0:1]
	v_add_u32_e32 v40, 52, v114
	v_mov_b32_e32 v25, v26
	v_mad_u64_u32 v[26:27], s[0:1], s16, v40, 0
	v_mov_b32_e32 v0, v27
	v_mad_u64_u32 v[40:41], s[0:1], s17, v40, v[0:1]
	v_add_u32_e32 v42, 0x4e, v114
	v_mov_b32_e32 v27, v40
	v_mad_u64_u32 v[40:41], s[0:1], s16, v42, 0
	v_mov_b32_e32 v0, v41
	v_mad_u64_u32 v[42:43], s[0:1], s17, v42, v[0:1]
	v_add_u32_e32 v44, 0x68, v114
	v_mov_b32_e32 v41, v42
	v_mad_u64_u32 v[42:43], s[0:1], s16, v44, 0
	v_mov_b32_e32 v0, v43
	v_mad_u64_u32 v[44:45], s[0:1], s17, v44, v[0:1]
	v_add_u32_e32 v46, 0x82, v114
	v_mov_b32_e32 v43, v44
	v_mad_u64_u32 v[44:45], s[0:1], s16, v46, 0
	v_mov_b32_e32 v0, v45
	v_mad_u64_u32 v[46:47], s[0:1], s17, v46, v[0:1]
	v_add_u32_e32 v48, 0x9c, v114
	v_mov_b32_e32 v45, v46
	v_mad_u64_u32 v[46:47], s[0:1], s16, v48, 0
	v_mov_b32_e32 v0, v47
	v_mad_u64_u32 v[48:49], s[0:1], s17, v48, v[0:1]
	v_add_u32_e32 v50, 0xb6, v114
	v_mov_b32_e32 v47, v48
	v_mad_u64_u32 v[48:49], s[0:1], s16, v50, 0
	v_mov_b32_e32 v0, v49
	v_mad_u64_u32 v[50:51], s[0:1], s17, v50, v[0:1]
	v_add_u32_e32 v52, 0xd0, v114
	v_mov_b32_e32 v49, v50
	v_mad_u64_u32 v[50:51], s[0:1], s16, v52, 0
	v_mov_b32_e32 v0, v51
	v_mad_u64_u32 v[52:53], s[0:1], s17, v52, v[0:1]
	v_add_u32_e32 v54, 0xea, v114
	v_mov_b32_e32 v51, v52
	v_mad_u64_u32 v[52:53], s[0:1], s16, v54, 0
	v_mov_b32_e32 v0, v53
	v_mad_u64_u32 v[54:55], s[0:1], s17, v54, v[0:1]
	v_add_u32_e32 v56, 0x104, v114
	v_mov_b32_e32 v53, v54
	v_mad_u64_u32 v[54:55], s[0:1], s16, v56, 0
	v_mov_b32_e32 v0, v55
	v_mad_u64_u32 v[56:57], s[0:1], s17, v56, v[0:1]
	v_add_u32_e32 v58, 0x11e, v114
	v_mov_b32_e32 v55, v56
	v_mad_u64_u32 v[56:57], s[0:1], s16, v58, 0
	v_mov_b32_e32 v0, v57
	v_mad_u64_u32 v[58:59], s[0:1], s17, v58, v[0:1]
	v_add_u32_e32 v60, 0x138, v114
	v_mov_b32_e32 v57, v58
	v_mad_u64_u32 v[58:59], s[0:1], s16, v60, 0
	v_mov_b32_e32 v0, v59
	v_mad_u64_u32 v[60:61], s[0:1], s17, v60, v[0:1]
	v_add_u32_e32 v62, 0x152, v114
	v_mov_b32_e32 v59, v60
	v_mad_u64_u32 v[60:61], s[0:1], s16, v62, 0
	v_mov_b32_e32 v0, v61
	v_mad_u64_u32 v[62:63], s[0:1], s17, v62, v[0:1]
	v_add_u32_e32 v96, 0x16c, v114
	v_mov_b32_e32 v61, v62
	v_mad_u64_u32 v[62:63], s[0:1], s16, v96, 0
	v_mov_b32_e32 v0, v63
	v_mad_u64_u32 v[96:97], s[0:1], s17, v96, v[0:1]
	v_add_u32_e32 v98, 0x186, v114
	v_mov_b32_e32 v63, v96
	v_mad_u64_u32 v[96:97], s[0:1], s16, v98, 0
	v_mov_b32_e32 v0, v97
	v_mad_u64_u32 v[98:99], s[0:1], s17, v98, v[0:1]
	v_mov_b32_e32 v97, v98
	s_waitcnt vmcnt(5)
	v_mov_b32_e32 v98, v77
	v_mov_b32_e32 v99, v69
	v_lshl_add_u64 v[24:25], v[24:25], 3, v[64:65]
	v_lshl_add_u64 v[26:27], v[26:27], 3, v[64:65]
	;; [unrolled: 1-line block ×15, first 2 shown]
	v_mov_b32_e32 v96, v76
	v_mov_b32_e32 v97, v68
	v_pk_mul_f32 v[98:99], v[10:11], v[98:99]
	s_waitcnt vmcnt(1)
	v_mov_b32_e32 v100, v89
	v_mov_b32_e32 v101, v85
	v_pk_fma_f32 v[96:97], v[38:39], v[96:97], v[98:99] neg_lo:[0,0,1] neg_hi:[0,0,1]
	v_mov_b32_e32 v98, v88
	v_mov_b32_e32 v99, v84
	v_pk_mul_f32 v[100:101], v[6:7], v[100:101]
	v_mov_b32_e32 v102, v68
	v_pk_fma_f32 v[98:99], v[36:37], v[98:99], v[100:101] neg_lo:[0,0,1] neg_hi:[0,0,1]
	v_mov_b32_e32 v100, v11
	v_mov_b32_e32 v101, v38
	;; [unrolled: 1-line block ×3, first 2 shown]
	v_pk_mul_f32 v[100:101], v[100:101], v[102:103]
	v_mov_b32_e32 v38, v39
	v_mov_b32_e32 v39, v10
	;; [unrolled: 1-line block ×4, first 2 shown]
	v_pk_fma_f32 v[10:11], v[38:39], v[10:11], v[100:101]
	v_mov_b32_e32 v38, v7
	v_mov_b32_e32 v39, v36
	;; [unrolled: 1-line block ×4, first 2 shown]
	v_pk_mul_f32 v[38:39], v[38:39], v[68:69]
	v_mov_b32_e32 v36, v37
	v_mov_b32_e32 v37, v6
	;; [unrolled: 1-line block ×4, first 2 shown]
	v_pk_fma_f32 v[6:7], v[36:37], v[6:7], v[38:39]
	v_pk_add_f32 v[98:99], v[96:97], v[98:99] neg_lo:[0,1] neg_hi:[0,1]
	v_pk_add_f32 v[36:37], v[10:11], v[6:7] neg_lo:[0,1] neg_hi:[0,1]
	v_mov_b32_e32 v0, v23
	v_pk_add_f32 v[38:39], v[98:99], v[36:37] neg_lo:[0,1] neg_hi:[0,1]
	v_pk_add_f32 v[6:7], v[98:99], v[36:37]
	s_mov_b32 s0, 0x3f3504f3
	v_mov_b32_e32 v39, v7
	v_pk_mul_f32 v[6:7], v[14:15], v[72:73] op_sel:[1,0]
	v_pk_mul_f32 v[68:69], v[38:39], s[0:1] op_sel_hi:[1,0]
	v_pk_fma_f32 v[76:77], v[14:15], v[72:73], v[6:7] op_sel:[0,0,1] op_sel_hi:[1,1,0] neg_lo:[0,0,1] neg_hi:[0,0,1]
	v_pk_fma_f32 v[6:7], v[14:15], v[72:73], v[6:7] op_sel:[0,0,1] op_sel_hi:[0,1,0]
	v_mov_b32_e32 v77, v7
	v_pk_mul_f32 v[6:7], v[22:23], v[80:81] op_sel_hi:[0,1]
	v_pk_fma_f32 v[72:73], v[0:1], v[80:81], v[6:7] op_sel:[0,0,1] op_sel_hi:[1,1,0]
	v_pk_fma_f32 v[22:23], v[0:1], v[80:81], v[6:7] op_sel:[0,0,1] op_sel_hi:[0,1,0] neg_lo:[1,0,0] neg_hi:[1,0,0]
	s_waitcnt vmcnt(0)
	v_pk_mul_f32 v[6:7], v[18:19], v[92:93] op_sel_hi:[0,1]
	v_pk_add_f32 v[14:15], v[28:29], v[76:77] neg_lo:[0,1] neg_hi:[0,1]
	v_pk_fma_f32 v[76:77], v[18:19], v[92:93], v[6:7] op_sel:[1,0,1] op_sel_hi:[1,1,0]
	v_pk_fma_f32 v[6:7], v[18:19], v[92:93], v[6:7] op_sel:[1,0,1] op_sel_hi:[1,1,0] neg_lo:[1,0,0] neg_hi:[1,0,0]
	v_mov_b32_e32 v73, v23
	v_mov_b32_e32 v77, v7
	v_pk_add_f32 v[18:19], v[72:73], v[76:77] neg_lo:[0,1] neg_hi:[0,1]
	v_mov_b32_e32 v88, v79
	v_pk_add_f32 v[76:77], v[14:15], v[18:19] neg_lo:[0,1] neg_hi:[0,1]
	v_pk_add_f32 v[80:81], v[14:15], v[18:19]
	v_mov_b32_e32 v89, v71
	v_mov_b32_e32 v77, v81
	v_pk_fma_f32 v[84:85], v[38:39], s[0:1], v[76:77] op_sel_hi:[1,0,1]
	v_pk_mul_f32 v[88:89], v[12:13], v[88:89]
	v_pk_add_f32 v[6:7], v[84:85], v[68:69] op_sel:[0,1] op_sel_hi:[1,0] neg_lo:[0,1] neg_hi:[0,1]
	v_pk_add_f32 v[68:69], v[84:85], v[68:69] op_sel:[0,1] op_sel_hi:[1,0]
	v_mov_b32_e32 v84, v78
	v_mov_b32_e32 v85, v70
	;; [unrolled: 1-line block ×4, first 2 shown]
	v_pk_fma_f32 v[84:85], v[2:3], v[84:85], v[88:89] neg_lo:[0,0,1] neg_hi:[0,0,1]
	v_mov_b32_e32 v88, v90
	v_mov_b32_e32 v89, v94
	v_pk_mul_f32 v[92:93], v[34:35], v[92:93]
	v_mov_b32_e32 v100, v70
	v_pk_fma_f32 v[88:89], v[30:31], v[88:89], v[92:93] neg_lo:[0,0,1] neg_hi:[0,0,1]
	v_mov_b32_e32 v92, v13
	v_mov_b32_e32 v93, v2
	v_mov_b32_e32 v101, v79
	v_pk_mul_f32 v[92:93], v[92:93], v[100:101]
	v_mov_b32_e32 v2, v3
	v_mov_b32_e32 v3, v12
	v_mov_b32_e32 v12, v71
	v_mov_b32_e32 v13, v78
	v_mov_b32_e32 v8, v1
	v_pk_fma_f32 v[2:3], v[2:3], v[12:13], v[92:93]
	v_mov_b32_e32 v12, v35
	v_mov_b32_e32 v13, v30
	;; [unrolled: 1-line block ×6, first 2 shown]
	v_pk_mul_f32 v[12:13], v[12:13], v[70:71]
	v_mov_b32_e32 v35, v90
	v_mov_b32_e32 v70, v74
	;; [unrolled: 1-line block ×3, first 2 shown]
	v_pk_mul_f32 v[78:79], v[8:9], v[78:79]
	v_mov_b32_e32 v90, v87
	v_mov_b32_e32 v91, v83
	v_pk_fma_f32 v[70:71], v[32:33], v[70:71], v[78:79] neg_lo:[0,0,1] neg_hi:[0,0,1]
	v_mov_b32_e32 v78, v86
	v_mov_b32_e32 v79, v82
	v_pk_mul_f32 v[90:91], v[4:5], v[90:91]
	v_mov_b32_e32 v8, v9
	v_pk_fma_f32 v[78:79], v[16:17], v[78:79], v[90:91] neg_lo:[0,0,1] neg_hi:[0,0,1]
	v_mov_b32_e32 v9, v32
	v_mov_b32_e32 v90, v66
	;; [unrolled: 1-line block ×3, first 2 shown]
	v_pk_mul_f32 v[8:9], v[8:9], v[90:91]
	v_mov_b32_e32 v0, v33
	v_mov_b32_e32 v32, v67
	;; [unrolled: 1-line block ×3, first 2 shown]
	v_pk_fma_f32 v[0:1], v[0:1], v[32:33], v[8:9]
	v_mov_b32_e32 v8, v5
	v_mov_b32_e32 v9, v16
	;; [unrolled: 1-line block ×7, first 2 shown]
	v_pk_mul_f32 v[8:9], v[8:9], v[32:33]
	v_mov_b32_e32 v16, v17
	v_mov_b32_e32 v17, v4
	;; [unrolled: 1-line block ×4, first 2 shown]
	v_pk_fma_f32 v[12:13], v[30:31], v[34:35], v[12:13]
	v_pk_fma_f32 v[4:5], v[16:17], v[4:5], v[8:9]
	v_pk_add_f32 v[88:89], v[84:85], v[88:89] neg_lo:[0,1] neg_hi:[0,1]
	v_pk_add_f32 v[12:13], v[2:3], v[12:13] neg_lo:[0,1] neg_hi:[0,1]
	;; [unrolled: 1-line block ×5, first 2 shown]
	v_pk_add_f32 v[34:35], v[88:89], v[12:13]
	v_pk_add_f32 v[8:9], v[78:79], v[4:5] neg_lo:[0,1] neg_hi:[0,1]
	v_pk_add_f32 v[16:17], v[78:79], v[4:5]
	v_mov_b32_e32 v31, v35
	v_mov_b32_e32 v9, v17
	v_pk_mul_f32 v[34:35], v[30:31], s[0:1] op_sel_hi:[1,0]
	v_pk_fma_f32 v[32:33], v[30:31], s[0:1], v[8:9] op_sel_hi:[1,0,1]
	v_mov_b32_e32 v7, v69
	v_pk_add_f32 v[66:67], v[32:33], v[34:35] op_sel:[0,1] op_sel_hi:[1,0] neg_lo:[0,1] neg_hi:[0,1]
	v_pk_add_f32 v[32:33], v[32:33], v[34:35] op_sel:[0,1] op_sel_hi:[1,0]
	s_mov_b32 s2, 0x3f6c835e
	v_mov_b32_e32 v67, v33
	s_mov_b32 s4, 0x3ec3ef15
	v_pk_fma_f32 v[34:35], v[66:67], s[2:3], v[6:7] op_sel_hi:[1,0,1]
	v_pk_mul_f32 v[74:75], v[66:67], s[4:5] op_sel_hi:[1,0]
	v_fma_f32 v16, v81, 2.0, -v69
	v_fma_f32 v32, v17, 2.0, -v33
	v_pk_add_f32 v[82:83], v[34:35], v[74:75] op_sel:[0,1] op_sel_hi:[1,0] neg_lo:[0,1] neg_hi:[0,1]
	v_pk_add_f32 v[34:35], v[34:35], v[74:75] op_sel:[0,1] op_sel_hi:[1,0]
	v_fma_f32 v22, v8, 2.0, -v66
	v_fmamk_f32 v17, v32, 0xbec3ef15, v16
	v_fmac_f32_e32 v17, 0x3f6c835e, v22
	v_fma_f32 v34, v76, 2.0, -v6
	v_fma_f32 v33, v16, 2.0, -v17
	v_fmamk_f32 v16, v22, 0xbec3ef15, v34
	v_fmac_f32_e32 v16, 0xbf6c835e, v32
	v_mov_b32_e32 v83, v35
	v_fma_f32 v32, v34, 2.0, -v16
	v_mov_b32_e32 v34, v28
	v_mov_b32_e32 v35, v96
	;; [unrolled: 1-line block ×4, first 2 shown]
	v_pk_fma_f32 v[34:35], v[34:35], 2.0, v[66:67] op_sel_hi:[1,0,1] neg_lo:[0,0,1] neg_hi:[0,0,1]
	v_mov_b32_e32 v28, v11
	v_mov_b32_e32 v66, v37
	;; [unrolled: 1-line block ×6, first 2 shown]
	v_pk_fma_f32 v[28:29], v[28:29], 2.0, v[66:67] op_sel_hi:[1,0,1] neg_lo:[0,0,1] neg_hi:[0,0,1]
	v_mov_b32_e32 v11, v72
	v_mov_b32_e32 v66, v36
	;; [unrolled: 1-line block ×3, first 2 shown]
	v_pk_fma_f32 v[22:23], v[96:97], 2.0, v[22:23] op_sel_hi:[1,0,1] neg_lo:[0,0,1] neg_hi:[0,0,1]
	v_pk_fma_f32 v[10:11], v[10:11], 2.0, v[66:67] op_sel_hi:[1,0,1] neg_lo:[0,0,1] neg_hi:[0,0,1]
	v_pk_add_f32 v[22:23], v[34:35], v[22:23] neg_lo:[0,1] neg_hi:[0,1]
	v_pk_add_f32 v[10:11], v[28:29], v[10:11] neg_lo:[0,1] neg_hi:[0,1]
	v_mov_b32_e32 v68, v78
	v_pk_add_f32 v[18:19], v[22:23], v[10:11] neg_lo:[0,1] neg_hi:[0,1]
	v_pk_add_f32 v[66:67], v[22:23], v[10:11]
	v_mov_b32_e32 v69, v88
	v_mov_b32_e32 v19, v67
	;; [unrolled: 1-line block ×4, first 2 shown]
	v_pk_fma_f32 v[66:67], v[66:67], 2.0, v[68:69] op_sel_hi:[1,0,1] neg_lo:[0,0,1] neg_hi:[0,0,1]
	v_mov_b32_e32 v84, v71
	v_mov_b32_e32 v68, v79
	;; [unrolled: 1-line block ×10, first 2 shown]
	v_pk_fma_f32 v[68:69], v[84:85], 2.0, v[68:69] op_sel_hi:[1,0,1] neg_lo:[0,0,1] neg_hi:[0,0,1]
	v_pk_fma_f32 v[70:71], v[70:71], 2.0, v[72:73] op_sel_hi:[1,0,1] neg_lo:[0,0,1] neg_hi:[0,0,1]
	;; [unrolled: 1-line block ×3, first 2 shown]
	v_pk_add_f32 v[68:69], v[66:67], v[68:69] neg_lo:[0,1] neg_hi:[0,1]
	v_pk_add_f32 v[0:1], v[70:71], v[0:1] neg_lo:[0,1] neg_hi:[0,1]
	v_mov_b32_e32 v99, v37
	v_pk_add_f32 v[2:3], v[68:69], v[0:1] neg_lo:[0,1] neg_hi:[0,1]
	v_pk_add_f32 v[72:73], v[68:69], v[0:1]
	v_mov_b32_e32 v89, v13
	v_mov_b32_e32 v3, v73
	;; [unrolled: 1-line block ×3, first 2 shown]
	v_pk_mul_f32 v[72:73], v[2:3], s[0:1] op_sel_hi:[1,0]
	v_pk_fma_f32 v[74:75], v[2:3], s[0:1], v[18:19] op_sel_hi:[1,0,1]
	v_pk_fma_f32 v[36:37], v[98:99], 2.0, v[38:39] op_sel_hi:[1,0,1] neg_lo:[0,0,1] neg_hi:[0,0,1]
	v_pk_fma_f32 v[14:15], v[14:15], 2.0, v[76:77] op_sel_hi:[1,0,1] neg_lo:[0,0,1] neg_hi:[0,0,1]
	;; [unrolled: 1-line block ×4, first 2 shown]
	v_pk_add_f32 v[80:81], v[74:75], v[72:73] op_sel:[0,1] op_sel_hi:[1,0] neg_lo:[0,1] neg_hi:[0,1]
	v_pk_add_f32 v[72:73], v[74:75], v[72:73] op_sel:[0,1] op_sel_hi:[1,0]
	v_pk_mul_f32 v[38:39], v[36:37], s[0:1] op_sel_hi:[1,0]
	v_pk_fma_f32 v[36:37], v[36:37], s[0:1], v[14:15] op_sel_hi:[1,0,1] neg_lo:[1,0,0] neg_hi:[1,0,0]
	v_pk_mul_f32 v[30:31], v[12:13], s[0:1] op_sel_hi:[1,0]
	v_pk_fma_f32 v[8:9], v[12:13], s[0:1], v[4:5] op_sel_hi:[1,0,1] neg_lo:[1,0,0] neg_hi:[1,0,0]
	v_mov_b32_e32 v81, v73
	v_pk_add_f32 v[72:73], v[36:37], v[38:39] op_sel:[0,1] op_sel_hi:[1,0] neg_lo:[0,1] neg_hi:[0,1]
	v_pk_add_f32 v[36:37], v[36:37], v[38:39] op_sel:[0,1] op_sel_hi:[1,0]
	v_pk_add_f32 v[12:13], v[8:9], v[30:31] op_sel:[0,1] op_sel_hi:[1,0] neg_lo:[0,1] neg_hi:[0,1]
	v_pk_add_f32 v[8:9], v[8:9], v[30:31] op_sel:[0,1] op_sel_hi:[1,0]
	v_mov_b32_e32 v73, v37
	v_mov_b32_e32 v13, v9
	v_pk_fma_f32 v[30:31], v[12:13], s[4:5], v[72:73] op_sel_hi:[1,0,1]
	v_pk_mul_f32 v[38:39], v[12:13], s[2:3] op_sel_hi:[1,0]
	v_fma_f32 v8, v15, 2.0, -v37
	v_fma_f32 v4, v4, 2.0, -v12
	v_fma_f32 v12, v5, 2.0, -v9
	v_fmamk_f32 v5, v12, 0xbf6c835e, v8
	v_pk_add_f32 v[74:75], v[30:31], v[38:39] op_sel:[0,1] op_sel_hi:[1,0] neg_lo:[0,1] neg_hi:[0,1]
	v_pk_add_f32 v[30:31], v[30:31], v[38:39] op_sel:[0,1] op_sel_hi:[1,0]
	v_fmac_f32_e32 v5, 0x3ec3ef15, v4
	v_mov_b32_e32 v75, v31
	v_fma_f32 v9, v8, 2.0, -v5
	v_fma_f32 v8, v14, 2.0, -v72
	v_mov_b32_e32 v14, v22
	v_mov_b32_e32 v30, v35
	;; [unrolled: 1-line block ×5, first 2 shown]
	v_fmamk_f32 v4, v4, 0xbf6c835e, v8
	v_mov_b32_e32 v13, v29
	v_mov_b32_e32 v15, v11
	v_pk_fma_f32 v[10:11], v[30:31], 2.0, v[22:23] op_sel_hi:[1,0,1] neg_lo:[0,0,1] neg_hi:[0,0,1]
	v_mov_b32_e32 v22, v71
	v_mov_b32_e32 v23, v66
	;; [unrolled: 1-line block ×4, first 2 shown]
	v_fmac_f32_e32 v4, 0xbec3ef15, v12
	v_mov_b32_e32 v12, v34
	v_pk_fma_f32 v[22:23], v[22:23], 2.0, v[28:29] op_sel_hi:[1,0,1] neg_lo:[0,0,1] neg_hi:[0,0,1]
	v_mov_b32_e32 v71, v67
	v_mov_b32_e32 v28, v0
	;; [unrolled: 1-line block ×3, first 2 shown]
	v_pk_fma_f32 v[12:13], v[12:13], 2.0, v[14:15] op_sel_hi:[1,0,1] neg_lo:[0,0,1] neg_hi:[0,0,1]
	v_pk_fma_f32 v[28:29], v[70:71], 2.0, v[28:29] op_sel_hi:[1,0,1] neg_lo:[0,0,1] neg_hi:[0,0,1]
	v_mov_b32_e32 v69, v1
	v_pk_add_f32 v[10:11], v[12:13], v[10:11] neg_lo:[0,1] neg_hi:[0,1]
	v_pk_add_f32 v[28:29], v[22:23], v[28:29] neg_lo:[0,1] neg_hi:[0,1]
	v_pk_fma_f32 v[14:15], v[14:15], 2.0, v[18:19] op_sel_hi:[1,0,1] neg_lo:[0,0,1] neg_hi:[0,0,1]
	v_pk_fma_f32 v[0:1], v[68:69], 2.0, v[2:3] op_sel_hi:[1,0,1] neg_lo:[0,0,1] neg_hi:[0,0,1]
	v_pk_add_f32 v[30:31], v[10:11], v[28:29] neg_lo:[0,1] neg_hi:[0,1]
	v_pk_add_f32 v[34:35], v[10:11], v[28:29]
	v_pk_mul_f32 v[2:3], v[0:1], s[0:1] op_sel_hi:[1,0]
	v_pk_fma_f32 v[0:1], v[0:1], s[0:1], v[14:15] op_sel_hi:[1,0,1] neg_lo:[1,0,0] neg_hi:[1,0,0]
	v_mov_b32_e32 v31, v35
	v_pk_add_f32 v[34:35], v[0:1], v[2:3] op_sel:[0,1] op_sel_hi:[1,0] neg_lo:[0,1] neg_hi:[0,1]
	v_pk_add_f32 v[0:1], v[0:1], v[2:3] op_sel:[0,1] op_sel_hi:[1,0]
	v_pk_fma_f32 v[2:3], v[22:23], 2.0, v[28:29] op_sel_hi:[1,0,1] neg_lo:[0,0,1] neg_hi:[0,0,1]
	v_mov_b32_e32 v35, v1
	v_pk_fma_f32 v[0:1], v[12:13], 2.0, v[10:11] op_sel_hi:[1,0,1] neg_lo:[0,0,1] neg_hi:[0,0,1]
	v_fma_f32 v8, v8, 2.0, -v4
	v_pk_add_f32 v[2:3], v[0:1], v[2:3] op_sel:[0,1] op_sel_hi:[1,0] neg_lo:[0,1] neg_hi:[0,1]
	s_nop 0
	v_pk_fma_f32 v[0:1], v[0:1], 2.0, v[2:3] op_sel_hi:[1,0,1] neg_lo:[0,0,1] neg_hi:[0,0,1]
	global_store_dwordx2 v[20:21], v[0:1], off
	global_store_dwordx2 v[24:25], v[8:9], off
	v_pk_fma_f32 v[0:1], v[14:15], 2.0, v[34:35] op_sel_hi:[1,0,1] neg_lo:[0,0,1] neg_hi:[0,0,1]
	global_store_dwordx2 v[26:27], v[0:1], off
	global_store_dwordx2 v[40:41], v[32:33], off
	v_pk_fma_f32 v[0:1], v[10:11], 2.0, v[30:31] op_sel_hi:[1,0,1] neg_lo:[0,0,1] neg_hi:[0,0,1]
	global_store_dwordx2 v[42:43], v[0:1], off
	v_pk_fma_f32 v[0:1], v[72:73], 2.0, v[74:75] op_sel_hi:[1,0,1] neg_lo:[0,0,1] neg_hi:[0,0,1]
	;; [unrolled: 2-line block ×4, first 2 shown]
	global_store_dwordx2 v[48:49], v[0:1], off
	global_store_dwordx2 v[50:51], v[2:3], off
	;; [unrolled: 1-line block ×9, first 2 shown]
.LBB0_23:
	s_endpgm
	.section	.rodata,"a",@progbits
	.p2align	6, 0x0
	.amdhsa_kernel fft_rtc_fwd_len416_factors_13_2_16_wgs_64_tpt_32_sp_op_CI_CI_sbrr_dirReg
		.amdhsa_group_segment_fixed_size 0
		.amdhsa_private_segment_fixed_size 0
		.amdhsa_kernarg_size 104
		.amdhsa_user_sgpr_count 2
		.amdhsa_user_sgpr_dispatch_ptr 0
		.amdhsa_user_sgpr_queue_ptr 0
		.amdhsa_user_sgpr_kernarg_segment_ptr 1
		.amdhsa_user_sgpr_dispatch_id 0
		.amdhsa_user_sgpr_kernarg_preload_length 0
		.amdhsa_user_sgpr_kernarg_preload_offset 0
		.amdhsa_user_sgpr_private_segment_size 0
		.amdhsa_uses_dynamic_stack 0
		.amdhsa_enable_private_segment 0
		.amdhsa_system_sgpr_workgroup_id_x 1
		.amdhsa_system_sgpr_workgroup_id_y 0
		.amdhsa_system_sgpr_workgroup_id_z 0
		.amdhsa_system_sgpr_workgroup_info 0
		.amdhsa_system_vgpr_workitem_id 0
		.amdhsa_next_free_vgpr 182
		.amdhsa_next_free_sgpr 58
		.amdhsa_accum_offset 184
		.amdhsa_reserve_vcc 1
		.amdhsa_float_round_mode_32 0
		.amdhsa_float_round_mode_16_64 0
		.amdhsa_float_denorm_mode_32 3
		.amdhsa_float_denorm_mode_16_64 3
		.amdhsa_dx10_clamp 1
		.amdhsa_ieee_mode 1
		.amdhsa_fp16_overflow 0
		.amdhsa_tg_split 0
		.amdhsa_exception_fp_ieee_invalid_op 0
		.amdhsa_exception_fp_denorm_src 0
		.amdhsa_exception_fp_ieee_div_zero 0
		.amdhsa_exception_fp_ieee_overflow 0
		.amdhsa_exception_fp_ieee_underflow 0
		.amdhsa_exception_fp_ieee_inexact 0
		.amdhsa_exception_int_div_zero 0
	.end_amdhsa_kernel
	.text
.Lfunc_end0:
	.size	fft_rtc_fwd_len416_factors_13_2_16_wgs_64_tpt_32_sp_op_CI_CI_sbrr_dirReg, .Lfunc_end0-fft_rtc_fwd_len416_factors_13_2_16_wgs_64_tpt_32_sp_op_CI_CI_sbrr_dirReg
                                        ; -- End function
	.section	.AMDGPU.csdata,"",@progbits
; Kernel info:
; codeLenInByte = 8548
; NumSgprs: 64
; NumVgprs: 182
; NumAgprs: 0
; TotalNumVgprs: 182
; ScratchSize: 0
; MemoryBound: 0
; FloatMode: 240
; IeeeMode: 1
; LDSByteSize: 0 bytes/workgroup (compile time only)
; SGPRBlocks: 7
; VGPRBlocks: 22
; NumSGPRsForWavesPerEU: 64
; NumVGPRsForWavesPerEU: 182
; AccumOffset: 184
; Occupancy: 2
; WaveLimiterHint : 1
; COMPUTE_PGM_RSRC2:SCRATCH_EN: 0
; COMPUTE_PGM_RSRC2:USER_SGPR: 2
; COMPUTE_PGM_RSRC2:TRAP_HANDLER: 0
; COMPUTE_PGM_RSRC2:TGID_X_EN: 1
; COMPUTE_PGM_RSRC2:TGID_Y_EN: 0
; COMPUTE_PGM_RSRC2:TGID_Z_EN: 0
; COMPUTE_PGM_RSRC2:TIDIG_COMP_CNT: 0
; COMPUTE_PGM_RSRC3_GFX90A:ACCUM_OFFSET: 45
; COMPUTE_PGM_RSRC3_GFX90A:TG_SPLIT: 0
	.text
	.p2alignl 6, 3212836864
	.fill 256, 4, 3212836864
	.type	__hip_cuid_aaef6c673968622d,@object ; @__hip_cuid_aaef6c673968622d
	.section	.bss,"aw",@nobits
	.globl	__hip_cuid_aaef6c673968622d
__hip_cuid_aaef6c673968622d:
	.byte	0                               ; 0x0
	.size	__hip_cuid_aaef6c673968622d, 1

	.ident	"AMD clang version 19.0.0git (https://github.com/RadeonOpenCompute/llvm-project roc-6.4.0 25133 c7fe45cf4b819c5991fe208aaa96edf142730f1d)"
	.section	".note.GNU-stack","",@progbits
	.addrsig
	.addrsig_sym __hip_cuid_aaef6c673968622d
	.amdgpu_metadata
---
amdhsa.kernels:
  - .agpr_count:     0
    .args:
      - .actual_access:  read_only
        .address_space:  global
        .offset:         0
        .size:           8
        .value_kind:     global_buffer
      - .offset:         8
        .size:           8
        .value_kind:     by_value
      - .actual_access:  read_only
        .address_space:  global
        .offset:         16
        .size:           8
        .value_kind:     global_buffer
      - .actual_access:  read_only
        .address_space:  global
        .offset:         24
        .size:           8
        .value_kind:     global_buffer
      - .actual_access:  read_only
        .address_space:  global
        .offset:         32
        .size:           8
        .value_kind:     global_buffer
      - .offset:         40
        .size:           8
        .value_kind:     by_value
      - .actual_access:  read_only
        .address_space:  global
        .offset:         48
        .size:           8
        .value_kind:     global_buffer
      - .actual_access:  read_only
        .address_space:  global
        .offset:         56
        .size:           8
        .value_kind:     global_buffer
      - .offset:         64
        .size:           4
        .value_kind:     by_value
      - .actual_access:  read_only
        .address_space:  global
        .offset:         72
        .size:           8
        .value_kind:     global_buffer
      - .actual_access:  read_only
        .address_space:  global
        .offset:         80
        .size:           8
        .value_kind:     global_buffer
      - .actual_access:  read_only
        .address_space:  global
        .offset:         88
        .size:           8
        .value_kind:     global_buffer
      - .actual_access:  write_only
        .address_space:  global
        .offset:         96
        .size:           8
        .value_kind:     global_buffer
    .group_segment_fixed_size: 0
    .kernarg_segment_align: 8
    .kernarg_segment_size: 104
    .language:       OpenCL C
    .language_version:
      - 2
      - 0
    .max_flat_workgroup_size: 64
    .name:           fft_rtc_fwd_len416_factors_13_2_16_wgs_64_tpt_32_sp_op_CI_CI_sbrr_dirReg
    .private_segment_fixed_size: 0
    .sgpr_count:     64
    .sgpr_spill_count: 0
    .symbol:         fft_rtc_fwd_len416_factors_13_2_16_wgs_64_tpt_32_sp_op_CI_CI_sbrr_dirReg.kd
    .uniform_work_group_size: 1
    .uses_dynamic_stack: false
    .vgpr_count:     182
    .vgpr_spill_count: 0
    .wavefront_size: 64
amdhsa.target:   amdgcn-amd-amdhsa--gfx950
amdhsa.version:
  - 1
  - 2
...

	.end_amdgpu_metadata
